;; amdgpu-corpus repo=ROCm/rocFFT kind=compiled arch=gfx906 opt=O3
	.text
	.amdgcn_target "amdgcn-amd-amdhsa--gfx906"
	.amdhsa_code_object_version 6
	.protected	fft_rtc_fwd_len1078_factors_2_11_7_7_wgs_231_tpt_77_halfLds_sp_op_CI_CI_unitstride_sbrr_C2R_dirReg ; -- Begin function fft_rtc_fwd_len1078_factors_2_11_7_7_wgs_231_tpt_77_halfLds_sp_op_CI_CI_unitstride_sbrr_C2R_dirReg
	.globl	fft_rtc_fwd_len1078_factors_2_11_7_7_wgs_231_tpt_77_halfLds_sp_op_CI_CI_unitstride_sbrr_C2R_dirReg
	.p2align	8
	.type	fft_rtc_fwd_len1078_factors_2_11_7_7_wgs_231_tpt_77_halfLds_sp_op_CI_CI_unitstride_sbrr_C2R_dirReg,@function
fft_rtc_fwd_len1078_factors_2_11_7_7_wgs_231_tpt_77_halfLds_sp_op_CI_CI_unitstride_sbrr_C2R_dirReg: ; @fft_rtc_fwd_len1078_factors_2_11_7_7_wgs_231_tpt_77_halfLds_sp_op_CI_CI_unitstride_sbrr_C2R_dirReg
; %bb.0:
	s_load_dwordx4 s[8:11], s[4:5], 0x58
	s_load_dwordx4 s[12:15], s[4:5], 0x0
	;; [unrolled: 1-line block ×3, first 2 shown]
	v_mul_u32_u24_e32 v1, 0x354, v0
	v_lshrrev_b32_e32 v1, 16, v1
	v_mad_u64_u32 v[3:4], s[0:1], s6, 3, v[1:2]
	v_mov_b32_e32 v5, 0
	v_mov_b32_e32 v1, 0
	;; [unrolled: 1-line block ×3, first 2 shown]
	s_waitcnt lgkmcnt(0)
	v_cmp_lt_u64_e64 s[0:1], s[14:15], 2
	v_mov_b32_e32 v2, 0
	v_mov_b32_e32 v37, v2
	;; [unrolled: 1-line block ×3, first 2 shown]
	s_and_b64 vcc, exec, s[0:1]
	v_mov_b32_e32 v36, v1
	v_mov_b32_e32 v38, v3
	s_cbranch_vccnz .LBB0_8
; %bb.1:
	s_load_dwordx2 s[0:1], s[4:5], 0x10
	s_add_u32 s2, s18, 8
	s_addc_u32 s3, s19, 0
	s_add_u32 s6, s16, 8
	v_mov_b32_e32 v1, 0
	s_addc_u32 s7, s17, 0
	v_mov_b32_e32 v2, 0
	s_waitcnt lgkmcnt(0)
	s_add_u32 s20, s0, 8
	v_mov_b32_e32 v37, v2
	v_mov_b32_e32 v8, v4
	s_addc_u32 s21, s1, 0
	s_mov_b64 s[22:23], 1
	v_mov_b32_e32 v36, v1
	v_mov_b32_e32 v7, v3
.LBB0_2:                                ; =>This Inner Loop Header: Depth=1
	s_load_dwordx2 s[24:25], s[20:21], 0x0
                                        ; implicit-def: $vgpr38_vgpr39
	s_waitcnt lgkmcnt(0)
	v_or_b32_e32 v6, s25, v8
	v_cmp_ne_u64_e32 vcc, 0, v[5:6]
	s_and_saveexec_b64 s[0:1], vcc
	s_xor_b64 s[26:27], exec, s[0:1]
	s_cbranch_execz .LBB0_4
; %bb.3:                                ;   in Loop: Header=BB0_2 Depth=1
	v_cvt_f32_u32_e32 v4, s24
	v_cvt_f32_u32_e32 v6, s25
	s_sub_u32 s0, 0, s24
	s_subb_u32 s1, 0, s25
	v_mac_f32_e32 v4, 0x4f800000, v6
	v_rcp_f32_e32 v4, v4
	v_mul_f32_e32 v4, 0x5f7ffffc, v4
	v_mul_f32_e32 v6, 0x2f800000, v4
	v_trunc_f32_e32 v6, v6
	v_mac_f32_e32 v4, 0xcf800000, v6
	v_cvt_u32_f32_e32 v6, v6
	v_cvt_u32_f32_e32 v4, v4
	v_mul_lo_u32 v9, s0, v6
	v_mul_hi_u32 v10, s0, v4
	v_mul_lo_u32 v12, s1, v4
	v_mul_lo_u32 v11, s0, v4
	v_add_u32_e32 v9, v10, v9
	v_add_u32_e32 v9, v9, v12
	v_mul_hi_u32 v10, v4, v11
	v_mul_lo_u32 v12, v4, v9
	v_mul_hi_u32 v14, v4, v9
	v_mul_hi_u32 v13, v6, v11
	v_mul_lo_u32 v11, v6, v11
	v_mul_hi_u32 v15, v6, v9
	v_add_co_u32_e32 v10, vcc, v10, v12
	v_addc_co_u32_e32 v12, vcc, 0, v14, vcc
	v_mul_lo_u32 v9, v6, v9
	v_add_co_u32_e32 v10, vcc, v10, v11
	v_addc_co_u32_e32 v10, vcc, v12, v13, vcc
	v_addc_co_u32_e32 v11, vcc, 0, v15, vcc
	v_add_co_u32_e32 v9, vcc, v10, v9
	v_addc_co_u32_e32 v10, vcc, 0, v11, vcc
	v_add_co_u32_e32 v4, vcc, v4, v9
	v_addc_co_u32_e32 v6, vcc, v6, v10, vcc
	v_mul_lo_u32 v9, s0, v6
	v_mul_hi_u32 v10, s0, v4
	v_mul_lo_u32 v11, s1, v4
	v_mul_lo_u32 v12, s0, v4
	v_add_u32_e32 v9, v10, v9
	v_add_u32_e32 v9, v9, v11
	v_mul_lo_u32 v13, v4, v9
	v_mul_hi_u32 v14, v4, v12
	v_mul_hi_u32 v15, v4, v9
	;; [unrolled: 1-line block ×3, first 2 shown]
	v_mul_lo_u32 v12, v6, v12
	v_mul_hi_u32 v10, v6, v9
	v_add_co_u32_e32 v13, vcc, v14, v13
	v_addc_co_u32_e32 v14, vcc, 0, v15, vcc
	v_mul_lo_u32 v9, v6, v9
	v_add_co_u32_e32 v12, vcc, v13, v12
	v_addc_co_u32_e32 v11, vcc, v14, v11, vcc
	v_addc_co_u32_e32 v10, vcc, 0, v10, vcc
	v_add_co_u32_e32 v9, vcc, v11, v9
	v_addc_co_u32_e32 v10, vcc, 0, v10, vcc
	v_add_co_u32_e32 v4, vcc, v4, v9
	v_addc_co_u32_e32 v6, vcc, v6, v10, vcc
	v_mad_u64_u32 v[9:10], s[0:1], v7, v6, 0
	v_mul_hi_u32 v11, v7, v4
	v_add_co_u32_e32 v13, vcc, v11, v9
	v_addc_co_u32_e32 v14, vcc, 0, v10, vcc
	v_mad_u64_u32 v[9:10], s[0:1], v8, v4, 0
	v_mad_u64_u32 v[11:12], s[0:1], v8, v6, 0
	v_add_co_u32_e32 v4, vcc, v13, v9
	v_addc_co_u32_e32 v4, vcc, v14, v10, vcc
	v_addc_co_u32_e32 v6, vcc, 0, v12, vcc
	v_add_co_u32_e32 v4, vcc, v4, v11
	v_addc_co_u32_e32 v6, vcc, 0, v6, vcc
	v_mul_lo_u32 v11, s25, v4
	v_mul_lo_u32 v12, s24, v6
	v_mad_u64_u32 v[9:10], s[0:1], s24, v4, 0
	v_add3_u32 v10, v10, v12, v11
	v_sub_u32_e32 v11, v8, v10
	v_mov_b32_e32 v12, s25
	v_sub_co_u32_e32 v9, vcc, v7, v9
	v_subb_co_u32_e64 v11, s[0:1], v11, v12, vcc
	v_subrev_co_u32_e64 v12, s[0:1], s24, v9
	v_subbrev_co_u32_e64 v11, s[0:1], 0, v11, s[0:1]
	v_cmp_le_u32_e64 s[0:1], s25, v11
	v_cndmask_b32_e64 v13, 0, -1, s[0:1]
	v_cmp_le_u32_e64 s[0:1], s24, v12
	v_cndmask_b32_e64 v12, 0, -1, s[0:1]
	v_cmp_eq_u32_e64 s[0:1], s25, v11
	v_cndmask_b32_e64 v11, v13, v12, s[0:1]
	v_add_co_u32_e64 v12, s[0:1], 2, v4
	v_addc_co_u32_e64 v13, s[0:1], 0, v6, s[0:1]
	v_add_co_u32_e64 v14, s[0:1], 1, v4
	v_addc_co_u32_e64 v15, s[0:1], 0, v6, s[0:1]
	v_subb_co_u32_e32 v10, vcc, v8, v10, vcc
	v_cmp_ne_u32_e64 s[0:1], 0, v11
	v_cmp_le_u32_e32 vcc, s25, v10
	v_cndmask_b32_e64 v11, v15, v13, s[0:1]
	v_cndmask_b32_e64 v13, 0, -1, vcc
	v_cmp_le_u32_e32 vcc, s24, v9
	v_cndmask_b32_e64 v9, 0, -1, vcc
	v_cmp_eq_u32_e32 vcc, s25, v10
	v_cndmask_b32_e32 v9, v13, v9, vcc
	v_cmp_ne_u32_e32 vcc, 0, v9
	v_cndmask_b32_e32 v39, v6, v11, vcc
	v_cndmask_b32_e64 v6, v14, v12, s[0:1]
	v_cndmask_b32_e32 v38, v4, v6, vcc
.LBB0_4:                                ;   in Loop: Header=BB0_2 Depth=1
	s_andn2_saveexec_b64 s[0:1], s[26:27]
	s_cbranch_execz .LBB0_6
; %bb.5:                                ;   in Loop: Header=BB0_2 Depth=1
	v_cvt_f32_u32_e32 v4, s24
	s_sub_i32 s26, 0, s24
	v_mov_b32_e32 v39, v5
	v_rcp_iflag_f32_e32 v4, v4
	v_mul_f32_e32 v4, 0x4f7ffffe, v4
	v_cvt_u32_f32_e32 v4, v4
	v_mul_lo_u32 v6, s26, v4
	v_mul_hi_u32 v6, v4, v6
	v_add_u32_e32 v4, v4, v6
	v_mul_hi_u32 v4, v7, v4
	v_mul_lo_u32 v6, v4, s24
	v_add_u32_e32 v9, 1, v4
	v_sub_u32_e32 v6, v7, v6
	v_subrev_u32_e32 v10, s24, v6
	v_cmp_le_u32_e32 vcc, s24, v6
	v_cndmask_b32_e32 v6, v6, v10, vcc
	v_cndmask_b32_e32 v4, v4, v9, vcc
	v_add_u32_e32 v9, 1, v4
	v_cmp_le_u32_e32 vcc, s24, v6
	v_cndmask_b32_e32 v38, v4, v9, vcc
.LBB0_6:                                ;   in Loop: Header=BB0_2 Depth=1
	s_or_b64 exec, exec, s[0:1]
	v_mul_lo_u32 v4, v39, s24
	v_mul_lo_u32 v6, v38, s25
	v_mad_u64_u32 v[9:10], s[0:1], v38, s24, 0
	s_load_dwordx2 s[0:1], s[6:7], 0x0
	s_load_dwordx2 s[24:25], s[2:3], 0x0
	v_add3_u32 v4, v10, v6, v4
	v_sub_co_u32_e32 v6, vcc, v7, v9
	v_subb_co_u32_e32 v4, vcc, v8, v4, vcc
	s_waitcnt lgkmcnt(0)
	v_mul_lo_u32 v7, s0, v4
	v_mul_lo_u32 v8, s1, v6
	v_mad_u64_u32 v[1:2], s[0:1], s0, v6, v[1:2]
	s_add_u32 s22, s22, 1
	s_addc_u32 s23, s23, 0
	s_add_u32 s2, s2, 8
	v_mul_lo_u32 v4, s24, v4
	v_mul_lo_u32 v9, s25, v6
	v_mad_u64_u32 v[36:37], s[0:1], s24, v6, v[36:37]
	v_add3_u32 v2, v8, v2, v7
	s_addc_u32 s3, s3, 0
	v_mov_b32_e32 v6, s14
	s_add_u32 s6, s6, 8
	v_mov_b32_e32 v7, s15
	s_addc_u32 s7, s7, 0
	v_cmp_ge_u64_e32 vcc, s[22:23], v[6:7]
	s_add_u32 s20, s20, 8
	v_add3_u32 v37, v9, v37, v4
	s_addc_u32 s21, s21, 0
	s_cbranch_vccnz .LBB0_8
; %bb.7:                                ;   in Loop: Header=BB0_2 Depth=1
	v_mov_b32_e32 v7, v38
	v_mov_b32_e32 v8, v39
	s_branch .LBB0_2
.LBB0_8:
	s_mov_b32 s0, 0xaaaaaaab
	s_load_dwordx2 s[4:5], s[4:5], 0x28
	v_mul_hi_u32 v4, v3, s0
	s_lshl_b64 s[6:7], s[14:15], 3
	s_add_u32 s2, s18, s6
	s_addc_u32 s3, s19, s7
	v_lshrrev_b32_e32 v4, 1, v4
	v_lshl_add_u32 v4, v4, 1, v4
	s_waitcnt lgkmcnt(0)
	v_cmp_gt_u64_e64 s[0:1], s[4:5], v[38:39]
	v_cmp_le_u64_e32 vcc, s[4:5], v[38:39]
	v_sub_u32_e32 v3, v3, v4
                                        ; implicit-def: $vgpr40
	s_and_saveexec_b64 s[4:5], vcc
	s_xor_b64 s[4:5], exec, s[4:5]
; %bb.9:
	s_mov_b32 s14, 0x3531ded
	v_mul_hi_u32 v1, v0, s14
	v_mul_u32_u24_e32 v1, 0x4d, v1
	v_sub_u32_e32 v40, v0, v1
                                        ; implicit-def: $vgpr0
                                        ; implicit-def: $vgpr1_vgpr2
; %bb.10:
	s_or_saveexec_b64 s[4:5], s[4:5]
	s_load_dwordx2 s[2:3], s[2:3], 0x0
	v_mul_u32_u24_e32 v3, 0x437, v3
	v_lshlrev_b32_e32 v50, 3, v3
	s_xor_b64 exec, exec, s[4:5]
	s_cbranch_execz .LBB0_14
; %bb.11:
	s_add_u32 s6, s16, s6
	s_addc_u32 s7, s17, s7
	s_load_dwordx2 s[6:7], s[6:7], 0x0
	s_mov_b32 s14, 0x3531ded
	v_mul_hi_u32 v6, v0, s14
	v_lshlrev_b64 v[1:2], 3, v[1:2]
	s_waitcnt lgkmcnt(0)
	v_mul_lo_u32 v7, s7, v38
	v_mul_lo_u32 v8, s6, v39
	v_mad_u64_u32 v[4:5], s[6:7], s6, v38, 0
	v_mul_u32_u24_e32 v6, 0x4d, v6
	v_sub_u32_e32 v40, v0, v6
	v_add3_u32 v5, v5, v8, v7
	v_lshlrev_b64 v[4:5], 3, v[4:5]
	v_mov_b32_e32 v0, s9
	v_add_co_u32_e32 v4, vcc, s8, v4
	v_addc_co_u32_e32 v0, vcc, v0, v5, vcc
	v_add_co_u32_e32 v1, vcc, v4, v1
	v_addc_co_u32_e32 v0, vcc, v0, v2, vcc
	v_lshlrev_b32_e32 v2, 3, v40
	v_add_co_u32_e32 v4, vcc, v1, v2
	v_addc_co_u32_e32 v5, vcc, 0, v0, vcc
	s_movk_i32 s6, 0x1000
	v_add_co_u32_e32 v6, vcc, s6, v4
	v_addc_co_u32_e32 v7, vcc, 0, v5, vcc
	global_load_dwordx2 v[8:9], v[4:5], off offset:2464
	global_load_dwordx2 v[10:11], v[4:5], off offset:3080
	;; [unrolled: 1-line block ×4, first 2 shown]
	global_load_dwordx2 v[16:17], v[4:5], off
	global_load_dwordx2 v[18:19], v[4:5], off offset:616
	global_load_dwordx2 v[20:21], v[4:5], off offset:1232
	;; [unrolled: 1-line block ×9, first 2 shown]
	s_movk_i32 s6, 0x4c
	v_add3_u32 v2, 0, v50, v2
	v_add_u32_e32 v4, 0x800, v2
	v_cmp_eq_u32_e32 vcc, s6, v40
	v_add_u32_e32 v5, 0xc00, v2
	v_add_u32_e32 v6, 0x1000, v2
	v_add_u32_e32 v7, 0x1800, v2
	s_waitcnt vmcnt(12)
	ds_write2_b64 v4, v[8:9], v[10:11] offset0:52 offset1:129
	s_waitcnt vmcnt(8)
	ds_write2_b64 v2, v[16:17], v[18:19] offset1:77
	s_waitcnt vmcnt(6)
	ds_write2_b64 v2, v[20:21], v[22:23] offset0:154 offset1:231
	ds_write2_b64 v5, v[12:13], v[14:15] offset0:78 offset1:155
	s_waitcnt vmcnt(4)
	ds_write2_b64 v6, v[24:25], v[26:27] offset0:104 offset1:181
	s_waitcnt vmcnt(2)
	ds_write2_b64 v7, v[28:29], v[30:31] offset0:2 offset1:79
	s_waitcnt vmcnt(0)
	ds_write2_b64 v7, v[32:33], v[34:35] offset0:156 offset1:233
	s_and_saveexec_b64 s[6:7], vcc
	s_cbranch_execz .LBB0_13
; %bb.12:
	v_add_co_u32_e32 v4, vcc, 0x2000, v1
	v_addc_co_u32_e32 v5, vcc, 0, v0, vcc
	global_load_dwordx2 v[0:1], v[4:5], off offset:432
	v_mov_b32_e32 v40, 0x4c
	s_waitcnt vmcnt(0)
	ds_write_b64 v2, v[0:1] offset:8016
.LBB0_13:
	s_or_b64 exec, exec, s[6:7]
.LBB0_14:
	s_or_b64 exec, exec, s[4:5]
	v_lshl_add_u32 v49, v3, 3, 0
	v_lshlrev_b32_e32 v0, 3, v40
	v_add_u32_e32 v51, v49, v0
	s_waitcnt lgkmcnt(0)
	s_barrier
	v_sub_u32_e32 v4, v49, v0
	ds_read_b32 v1, v51
	ds_read_b32 v2, v4 offset:8624
	s_add_u32 s6, s12, 0x21a0
	s_addc_u32 s7, s13, 0
	v_cmp_ne_u32_e32 vcc, 0, v40
	s_waitcnt lgkmcnt(0)
	v_add_f32_e32 v0, v2, v1
	v_sub_f32_e32 v1, v1, v2
                                        ; implicit-def: $vgpr2_vgpr3
	s_and_saveexec_b64 s[4:5], vcc
	s_xor_b64 s[4:5], exec, s[4:5]
	s_cbranch_execz .LBB0_16
; %bb.15:
	v_mov_b32_e32 v41, 0
	v_lshlrev_b64 v[2:3], 3, v[40:41]
	v_mov_b32_e32 v5, s7
	v_add_co_u32_e32 v2, vcc, s6, v2
	v_addc_co_u32_e32 v3, vcc, v5, v3, vcc
	global_load_dwordx2 v[2:3], v[2:3], off
	ds_read_b32 v5, v4 offset:8628
	ds_read_b32 v6, v51 offset:4
	s_waitcnt lgkmcnt(0)
	v_add_f32_e32 v9, v5, v6
	v_sub_f32_e32 v5, v6, v5
	s_waitcnt vmcnt(0)
	v_fma_f32 v10, v1, v3, v0
	v_fma_f32 v6, v9, v3, v5
	v_fma_f32 v7, -v1, v3, v0
	v_fma_f32 v8, v9, v3, -v5
	v_fma_f32 v5, -v2, v9, v10
	v_fmac_f32_e32 v6, v1, v2
	v_fmac_f32_e32 v7, v2, v9
	;; [unrolled: 1-line block ×3, first 2 shown]
	v_mov_b32_e32 v2, v40
	ds_write_b64 v51, v[5:6]
	ds_write_b64 v4, v[7:8] offset:8624
	v_mov_b32_e32 v3, v41
                                        ; implicit-def: $vgpr0
.LBB0_16:
	s_andn2_saveexec_b64 s[4:5], s[4:5]
	s_cbranch_execz .LBB0_18
; %bb.17:
	ds_write_b64 v51, v[0:1]
	ds_read_b64 v[0:1], v49 offset:4312
	v_mov_b32_e32 v2, 0
	v_mov_b32_e32 v3, 0
	s_waitcnt lgkmcnt(0)
	v_add_f32_e32 v0, v0, v0
	v_mul_f32_e32 v1, -2.0, v1
	ds_write_b64 v49, v[0:1] offset:4312
.LBB0_18:
	s_or_b64 exec, exec, s[4:5]
	v_lshlrev_b64 v[0:1], 3, v[2:3]
	v_mov_b32_e32 v2, s7
	v_add_co_u32_e32 v0, vcc, s6, v0
	v_addc_co_u32_e32 v1, vcc, v2, v1, vcc
	global_load_dwordx2 v[2:3], v[0:1], off offset:616
	global_load_dwordx2 v[5:6], v[0:1], off offset:1232
	;; [unrolled: 1-line block ×4, first 2 shown]
	ds_read_b64 v[11:12], v51 offset:616
	ds_read_b64 v[13:14], v4 offset:8008
	global_load_dwordx2 v[15:16], v[0:1], off offset:3080
	v_add_u32_e32 v53, 0x4d, v40
	v_cmp_gt_u32_e32 vcc, 21, v40
                                        ; implicit-def: $vgpr46
	s_waitcnt lgkmcnt(0)
	v_add_f32_e32 v17, v11, v13
	v_add_f32_e32 v18, v14, v12
	v_sub_f32_e32 v19, v11, v13
	v_sub_f32_e32 v13, v12, v14
	s_waitcnt vmcnt(4)
	v_fma_f32 v20, v19, v3, v17
	v_fma_f32 v14, v18, v3, v13
	v_fma_f32 v11, -v19, v3, v17
	v_fma_f32 v12, v18, v3, -v13
	v_fma_f32 v13, -v2, v18, v20
	v_fmac_f32_e32 v14, v19, v2
	v_fmac_f32_e32 v11, v2, v18
	;; [unrolled: 1-line block ×3, first 2 shown]
	ds_write_b64 v51, v[13:14] offset:616
	ds_write_b64 v4, v[11:12] offset:8008
	ds_read_b64 v[2:3], v51 offset:1232
	ds_read_b64 v[11:12], v4 offset:7392
	global_load_dwordx2 v[13:14], v[0:1], off offset:3696
	s_waitcnt lgkmcnt(0)
	v_add_f32_e32 v0, v2, v11
	v_add_f32_e32 v17, v12, v3
	v_sub_f32_e32 v11, v2, v11
	v_sub_f32_e32 v3, v3, v12
	s_waitcnt vmcnt(4)
	v_fma_f32 v12, v11, v6, v0
	v_fma_f32 v1, v17, v6, v3
	v_fma_f32 v2, -v11, v6, v0
	v_fma_f32 v3, v17, v6, -v3
	v_fma_f32 v0, -v5, v17, v12
	v_fmac_f32_e32 v1, v11, v5
	v_fmac_f32_e32 v2, v5, v17
	v_fmac_f32_e32 v3, v11, v5
	ds_write_b64 v51, v[0:1] offset:1232
	ds_write_b64 v4, v[2:3] offset:7392
	ds_read_b64 v[0:1], v51 offset:1848
	ds_read_b64 v[2:3], v4 offset:6776
	s_waitcnt lgkmcnt(0)
	v_add_f32_e32 v5, v0, v2
	v_add_f32_e32 v6, v3, v1
	v_sub_f32_e32 v11, v0, v2
	v_sub_f32_e32 v0, v1, v3
	s_waitcnt vmcnt(3)
	v_fma_f32 v12, v11, v8, v5
	v_fma_f32 v1, v6, v8, v0
	v_fma_f32 v2, -v11, v8, v5
	v_fma_f32 v3, v6, v8, -v0
	v_fma_f32 v0, -v7, v6, v12
	v_fmac_f32_e32 v1, v11, v7
	v_fmac_f32_e32 v2, v7, v6
	v_fmac_f32_e32 v3, v11, v7
	ds_write_b64 v51, v[0:1] offset:1848
	ds_write_b64 v4, v[2:3] offset:6776
	ds_read_b64 v[0:1], v51 offset:2464
	ds_read_b64 v[2:3], v4 offset:6160
	;; [unrolled: 18-line block ×3, first 2 shown]
	v_lshl_add_u32 v5, v40, 3, 0
	v_add_u32_e32 v52, v5, v50
	v_add_u32_e32 v8, 0x1000, v52
	;; [unrolled: 1-line block ×3, first 2 shown]
	s_waitcnt lgkmcnt(0)
	v_add_f32_e32 v5, v0, v2
	v_add_f32_e32 v6, v3, v1
	v_sub_f32_e32 v7, v0, v2
	v_sub_f32_e32 v0, v1, v3
	s_waitcnt vmcnt(1)
	v_fma_f32 v9, v7, v16, v5
	v_fma_f32 v1, v6, v16, v0
	v_fma_f32 v2, -v7, v16, v5
	v_fma_f32 v3, v6, v16, -v0
	v_fma_f32 v0, -v15, v6, v9
	v_fmac_f32_e32 v1, v7, v15
	v_fmac_f32_e32 v2, v15, v6
	v_fmac_f32_e32 v3, v7, v15
	ds_write_b64 v51, v[0:1] offset:3080
	ds_write_b64 v4, v[2:3] offset:5544
	ds_read_b64 v[1:2], v51 offset:3696
	ds_read_b64 v[5:6], v4 offset:4928
	v_add_u32_e32 v7, 0x400, v52
	v_add_u32_e32 v12, 0x1800, v52
	v_add_u32_e32 v0, 0x800, v52
	s_waitcnt lgkmcnt(0)
	v_add_f32_e32 v3, v1, v5
	v_add_f32_e32 v9, v6, v2
	v_sub_f32_e32 v10, v1, v5
	v_sub_f32_e32 v1, v2, v6
	s_waitcnt vmcnt(0)
	v_fma_f32 v15, v10, v14, v3
	v_fma_f32 v2, v9, v14, v1
	v_fma_f32 v6, v9, v14, -v1
	v_fma_f32 v5, -v10, v14, v3
	v_fma_f32 v1, -v13, v9, v15
	v_fmac_f32_e32 v2, v10, v13
	v_fmac_f32_e32 v6, v10, v13
	;; [unrolled: 1-line block ×3, first 2 shown]
	ds_write_b64 v51, v[1:2] offset:3696
	ds_write_b64 v4, v[5:6] offset:4928
	s_waitcnt lgkmcnt(0)
	s_barrier
	s_barrier
	ds_read2_b64 v[1:4], v8 offset0:27 offset1:104
	ds_read2_b64 v[13:16], v52 offset0:77 offset1:154
	;; [unrolled: 1-line block ×3, first 2 shown]
	ds_read_b64 v[6:7], v51
	ds_read_b64 v[9:10], v52 offset:8008
	ds_read2_b64 v[21:24], v11 offset0:53 offset1:130
	ds_read2_b64 v[25:28], v12 offset0:79 offset1:156
	;; [unrolled: 1-line block ×3, first 2 shown]
	s_waitcnt lgkmcnt(6)
	v_sub_f32_e32 v3, v13, v3
	v_sub_f32_e32 v4, v14, v4
	v_lshlrev_b32_e32 v5, 4, v53
	v_fma_f32 v13, v13, 2.0, -v3
	v_fma_f32 v14, v14, 2.0, -v4
	v_add3_u32 v5, 0, v5, v50
	s_waitcnt lgkmcnt(0)
	s_barrier
	ds_write2_b64 v5, v[13:14], v[3:4] offset1:1
	v_lshlrev_b32_e32 v5, 4, v40
	v_sub_f32_e32 v3, v15, v21
	v_sub_f32_e32 v4, v16, v22
	v_add3_u32 v21, 0, v5, v50
	v_fma_f32 v13, v15, 2.0, -v3
	v_fma_f32 v14, v16, 2.0, -v4
	v_add_u32_e32 v5, 0x9a0, v21
	ds_write2_b64 v5, v[13:14], v[3:4] offset1:1
	v_sub_f32_e32 v3, v17, v23
	v_sub_f32_e32 v4, v18, v24
	v_fma_f32 v13, v17, 2.0, -v3
	v_fma_f32 v14, v18, 2.0, -v4
	v_add_u32_e32 v5, 0xe70, v21
	v_sub_f32_e32 v1, v6, v1
	v_sub_f32_e32 v2, v7, v2
	ds_write2_b64 v5, v[13:14], v[3:4] offset1:1
	v_sub_f32_e32 v13, v19, v25
	v_sub_f32_e32 v14, v20, v26
	v_fma_f32 v6, v6, 2.0, -v1
	v_fma_f32 v7, v7, 2.0, -v2
	;; [unrolled: 1-line block ×4, first 2 shown]
	v_sub_f32_e32 v41, v29, v27
	v_sub_f32_e32 v42, v30, v28
	ds_write2_b64 v21, v[6:7], v[1:2] offset1:1
	v_add_u32_e32 v1, 0x1340, v21
	v_sub_f32_e32 v4, v31, v9
	v_sub_f32_e32 v5, v32, v10
	v_fma_f32 v9, v29, 2.0, -v41
	v_fma_f32 v10, v30, 2.0, -v42
	ds_write2_b64 v1, v[15:16], v[13:14] offset1:1
	v_add_u32_e32 v1, 0x1810, v21
	v_fma_f32 v43, v31, 2.0, -v4
	v_fma_f32 v44, v32, 2.0, -v5
	ds_write2_b64 v1, v[9:10], v[41:42] offset1:1
	v_add_u32_e32 v1, 0x1ce0, v21
	ds_write2_b64 v1, v[43:44], v[4:5] offset1:1
	s_waitcnt lgkmcnt(0)
	s_barrier
	ds_read_b64 v[47:48], v51
	v_add_u32_e32 v2, 0xc00, v52
	ds_read2_b64 v[16:19], v11 offset0:46 offset1:144
	ds_read2_b64 v[32:35], v52 offset0:98 offset1:196
	;; [unrolled: 1-line block ×5, first 2 shown]
                                        ; implicit-def: $vgpr7
                                        ; implicit-def: $vgpr1
                                        ; implicit-def: $vgpr15
                                        ; implicit-def: $vgpr11
	s_and_saveexec_b64 s[4:5], vcc
	s_cbranch_execz .LBB0_20
; %bb.19:
	ds_read2_b64 v[41:44], v52 offset0:77 offset1:175
	ds_read2_b64 v[4:7], v0 offset0:17 offset1:115
	;; [unrolled: 1-line block ×5, first 2 shown]
	ds_read_b64 v[45:46], v52 offset:8456
.LBB0_20:
	s_or_b64 exec, exec, s[4:5]
	v_and_b32_e32 v74, 1, v40
	v_mul_u32_u24_e32 v54, 10, v74
	v_lshlrev_b32_e32 v75, 3, v54
	global_load_dwordx4 v[54:57], v75, s[12:13]
	global_load_dwordx4 v[58:61], v75, s[12:13] offset:16
	global_load_dwordx4 v[62:65], v75, s[12:13] offset:32
	global_load_dwordx4 v[66:69], v75, s[12:13] offset:48
	global_load_dwordx4 v[70:73], v75, s[12:13] offset:64
	s_mov_b32 s7, 0x3ed4b147
	s_mov_b32 s6, 0x3f575c64
	;; [unrolled: 1-line block ×5, first 2 shown]
	s_waitcnt vmcnt(0) lgkmcnt(0)
	s_barrier
	v_mul_f32_e32 v75, v55, v33
	v_mul_f32_e32 v55, v55, v32
	;; [unrolled: 1-line block ×9, first 2 shown]
	v_fma_f32 v32, v54, v32, -v75
	v_fmac_f32_e32 v55, v54, v33
	v_mul_f32_e32 v77, v59, v29
	v_mul_f32_e32 v59, v59, v28
	;; [unrolled: 1-line block ×3, first 2 shown]
	v_fma_f32 v33, v56, v34, -v76
	v_fmac_f32_e32 v57, v56, v35
	v_fmac_f32_e32 v67, v66, v17
	;; [unrolled: 1-line block ×3, first 2 shown]
	v_fma_f32 v19, v20, v70, -v83
	v_add_f32_e32 v17, v32, v47
	v_add_f32_e32 v20, v55, v48
	v_mul_f32_e32 v78, v61, v31
	v_mul_f32_e32 v61, v61, v30
	v_fma_f32 v28, v58, v28, -v77
	v_fmac_f32_e32 v59, v58, v29
	v_add_f32_e32 v17, v17, v33
	v_add_f32_e32 v20, v20, v57
	v_mul_f32_e32 v79, v63, v25
	v_mul_f32_e32 v63, v63, v24
	v_fma_f32 v29, v60, v30, -v78
	v_fmac_f32_e32 v61, v60, v31
	;; [unrolled: 6-line block ×3, first 2 shown]
	v_add_f32_e32 v17, v17, v29
	v_add_f32_e32 v20, v20, v61
	v_mul_f32_e32 v84, v23, v73
	v_fma_f32 v25, v64, v26, -v80
	v_fmac_f32_e32 v65, v64, v27
	v_add_f32_e32 v17, v17, v24
	v_add_f32_e32 v20, v20, v63
	v_mul_f32_e32 v73, v22, v73
	v_fma_f32 v26, v66, v16, -v81
	v_fma_f32 v16, v22, v72, -v84
	v_add_f32_e32 v17, v17, v25
	v_add_f32_e32 v20, v20, v65
	v_fma_f32 v18, v68, v18, -v82
	v_fmac_f32_e32 v73, v23, v72
	v_sub_f32_e32 v23, v32, v16
	v_add_f32_e32 v17, v17, v26
	v_add_f32_e32 v20, v20, v67
	v_fmac_f32_e32 v71, v21, v70
	v_add_f32_e32 v22, v55, v73
	v_mul_f32_e32 v34, 0xbf68dda4, v23
	v_add_f32_e32 v17, v17, v18
	v_add_f32_e32 v20, v20, v69
	v_sub_f32_e32 v27, v55, v73
	v_mul_f32_e32 v31, 0xbf0a6770, v23
	v_mov_b32_e32 v56, v34
	v_fma_f32 v34, v22, s7, -v34
	v_add_f32_e32 v17, v17, v19
	v_add_f32_e32 v20, v20, v71
	v_mul_f32_e32 v60, 0xbf7d64f0, v23
	v_mul_f32_e32 v68, 0xbf4178ce, v23
	;; [unrolled: 1-line block ×3, first 2 shown]
	v_add_f32_e32 v21, v32, v16
	v_mul_f32_e32 v30, 0xbf0a6770, v27
	v_mul_f32_e32 v32, 0xbf68dda4, v27
	v_mov_b32_e32 v54, v31
	v_add_f32_e32 v16, v17, v16
	v_add_f32_e32 v17, v20, v73
	;; [unrolled: 1-line block ×3, first 2 shown]
	v_mul_f32_e32 v34, 0xbf7d64f0, v27
	v_mov_b32_e32 v62, v60
	v_mul_f32_e32 v64, 0xbf4178ce, v27
	v_mov_b32_e32 v70, v68
	;; [unrolled: 2-line block ×3, first 2 shown]
	v_fma_f32 v35, v21, s6, -v30
	v_fmac_f32_e32 v30, 0x3f575c64, v21
	v_fma_f32 v31, v22, s6, -v31
	v_fma_f32 v55, v21, s7, -v32
	v_fmac_f32_e32 v32, 0x3ed4b147, v21
	v_fmac_f32_e32 v54, 0x3f575c64, v22
	;; [unrolled: 1-line block ×3, first 2 shown]
	v_fma_f32 v58, v21, s8, -v34
	v_fmac_f32_e32 v62, 0xbe11bafb, v22
	v_fmac_f32_e32 v34, 0xbe11bafb, v21
	v_fma_f32 v60, v22, s8, -v60
	v_fma_f32 v66, v21, s9, -v64
	v_fmac_f32_e32 v70, 0xbf27a4f4, v22
	v_fmac_f32_e32 v64, 0xbf27a4f4, v21
	v_fma_f32 v68, v22, s9, -v68
	;; [unrolled: 4-line block ×3, first 2 shown]
	v_add_f32_e32 v23, v33, v19
	v_sub_f32_e32 v19, v33, v19
	v_sub_f32_e32 v33, v57, v71
	v_add_f32_e32 v35, v35, v47
	v_add_f32_e32 v30, v30, v47
	;; [unrolled: 1-line block ×10, first 2 shown]
	v_mul_f32_e32 v47, 0xbf68dda4, v33
	v_add_f32_e32 v31, v31, v48
	v_add_f32_e32 v54, v54, v48
	v_add_f32_e32 v56, v56, v48
	v_add_f32_e32 v62, v62, v48
	v_add_f32_e32 v60, v60, v48
	v_add_f32_e32 v70, v70, v48
	v_add_f32_e32 v68, v68, v48
	v_add_f32_e32 v73, v73, v48
	v_add_f32_e32 v22, v22, v48
	v_fma_f32 v48, v23, s7, -v47
	v_add_f32_e32 v27, v57, v71
	v_add_f32_e32 v35, v48, v35
	v_mul_f32_e32 v48, 0xbf68dda4, v19
	v_fmac_f32_e32 v47, 0x3ed4b147, v23
	v_add_f32_e32 v30, v47, v30
	v_fma_f32 v47, v27, s7, -v48
	v_add_f32_e32 v31, v47, v31
	v_mul_f32_e32 v47, 0xbf4178ce, v33
	v_mov_b32_e32 v57, v48
	v_fma_f32 v48, v23, s9, -v47
	v_fmac_f32_e32 v57, 0x3ed4b147, v27
	v_add_f32_e32 v48, v48, v55
	v_mul_f32_e32 v55, 0xbf4178ce, v19
	v_fmac_f32_e32 v47, 0xbf27a4f4, v23
	v_add_f32_e32 v54, v57, v54
	v_mov_b32_e32 v57, v55
	v_add_f32_e32 v32, v47, v32
	v_fma_f32 v47, v27, s9, -v55
	v_fmac_f32_e32 v57, 0xbf27a4f4, v27
	v_add_f32_e32 v20, v47, v20
	v_mul_f32_e32 v47, 0x3e903f40, v33
	v_add_f32_e32 v56, v57, v56
	v_fma_f32 v55, v23, s14, -v47
	v_mul_f32_e32 v57, 0x3e903f40, v19
	v_add_f32_e32 v55, v55, v58
	v_mov_b32_e32 v58, v57
	v_fmac_f32_e32 v47, 0xbf75a155, v23
	v_fmac_f32_e32 v58, 0xbf75a155, v27
	v_add_f32_e32 v34, v47, v34
	v_fma_f32 v47, v27, s14, -v57
	v_mul_f32_e32 v57, 0x3f7d64f0, v33
	v_add_f32_e32 v58, v58, v62
	v_add_f32_e32 v47, v47, v60
	v_fma_f32 v60, v23, s8, -v57
	v_mul_f32_e32 v62, 0x3f7d64f0, v19
	v_add_f32_e32 v60, v60, v66
	v_mov_b32_e32 v66, v62
	v_fma_f32 v62, v27, s8, -v62
	v_mul_f32_e32 v19, 0x3f0a6770, v19
	v_add_f32_e32 v62, v62, v68
	v_mov_b32_e32 v68, v19
	v_fmac_f32_e32 v66, 0xbe11bafb, v27
	v_fmac_f32_e32 v57, 0xbe11bafb, v23
	v_mul_f32_e32 v33, 0x3f0a6770, v33
	v_fmac_f32_e32 v68, 0x3f575c64, v27
	v_fma_f32 v19, v27, s6, -v19
	v_sub_f32_e32 v27, v59, v69
	v_add_f32_e32 v57, v57, v64
	v_fma_f32 v64, v23, s6, -v33
	v_fmac_f32_e32 v33, 0x3f575c64, v23
	v_add_f32_e32 v19, v19, v22
	v_add_f32_e32 v22, v28, v18
	v_sub_f32_e32 v18, v28, v18
	v_mul_f32_e32 v28, 0xbf7d64f0, v27
	v_add_f32_e32 v21, v33, v21
	v_fma_f32 v33, v22, s8, -v28
	v_add_f32_e32 v23, v59, v69
	v_add_f32_e32 v33, v33, v35
	v_mul_f32_e32 v35, 0xbf7d64f0, v18
	v_fmac_f32_e32 v28, 0xbe11bafb, v22
	v_add_f32_e32 v28, v28, v30
	v_fma_f32 v30, v23, s8, -v35
	v_add_f32_e32 v30, v30, v31
	v_mul_f32_e32 v31, 0x3e903f40, v27
	v_mov_b32_e32 v59, v35
	v_fma_f32 v35, v22, s14, -v31
	v_add_f32_e32 v35, v35, v48
	v_mul_f32_e32 v48, 0x3e903f40, v18
	v_fmac_f32_e32 v31, 0xbf75a155, v22
	v_add_f32_e32 v31, v31, v32
	v_fma_f32 v32, v23, s14, -v48
	v_fmac_f32_e32 v59, 0xbe11bafb, v23
	v_add_f32_e32 v20, v32, v20
	v_mul_f32_e32 v32, 0x3f68dda4, v27
	v_add_f32_e32 v54, v59, v54
	v_mov_b32_e32 v59, v48
	v_fma_f32 v48, v22, s7, -v32
	v_fmac_f32_e32 v59, 0xbf75a155, v23
	v_add_f32_e32 v48, v48, v55
	v_mul_f32_e32 v55, 0x3f68dda4, v18
	v_fmac_f32_e32 v32, 0x3ed4b147, v22
	v_add_f32_e32 v56, v59, v56
	v_mov_b32_e32 v59, v55
	v_add_f32_e32 v32, v32, v34
	v_fma_f32 v34, v23, s7, -v55
	v_fmac_f32_e32 v59, 0x3ed4b147, v23
	v_add_f32_e32 v34, v34, v47
	v_mul_f32_e32 v47, 0xbf0a6770, v27
	v_add_f32_e32 v58, v59, v58
	v_fma_f32 v55, v22, s6, -v47
	v_mul_f32_e32 v59, 0xbf0a6770, v18
	v_fmac_f32_e32 v47, 0x3f575c64, v22
	v_add_f32_e32 v47, v47, v57
	v_fma_f32 v57, v23, s6, -v59
	v_mul_f32_e32 v18, 0xbf4178ce, v18
	v_add_f32_e32 v55, v55, v60
	v_mov_b32_e32 v60, v59
	v_add_f32_e32 v57, v57, v62
	v_mul_f32_e32 v27, 0xbf4178ce, v27
	v_mov_b32_e32 v62, v18
	v_fma_f32 v18, v23, s9, -v18
	v_fmac_f32_e32 v60, 0x3f575c64, v23
	v_fma_f32 v59, v22, s9, -v27
	v_fmac_f32_e32 v62, 0xbf27a4f4, v23
	v_fmac_f32_e32 v27, 0xbf27a4f4, v22
	v_add_f32_e32 v18, v18, v19
	v_add_f32_e32 v19, v29, v26
	v_sub_f32_e32 v23, v29, v26
	v_sub_f32_e32 v26, v61, v67
	v_add_f32_e32 v21, v27, v21
	v_mul_f32_e32 v27, 0xbf4178ce, v26
	v_fma_f32 v29, v19, s9, -v27
	v_add_f32_e32 v22, v61, v67
	v_add_f32_e32 v29, v29, v33
	v_mul_f32_e32 v33, 0xbf4178ce, v23
	v_fmac_f32_e32 v27, 0xbf27a4f4, v19
	v_add_f32_e32 v27, v27, v28
	v_fma_f32 v28, v22, s9, -v33
	v_add_f32_e32 v28, v28, v30
	v_mul_f32_e32 v30, 0x3f7d64f0, v26
	v_mov_b32_e32 v61, v33
	v_fma_f32 v33, v19, s8, -v30
	v_add_f32_e32 v33, v33, v35
	v_mul_f32_e32 v35, 0x3f7d64f0, v23
	v_fmac_f32_e32 v30, 0xbe11bafb, v19
	v_add_f32_e32 v30, v30, v31
	v_fma_f32 v31, v22, s8, -v35
	v_fmac_f32_e32 v61, 0xbf27a4f4, v22
	v_add_f32_e32 v31, v31, v20
	v_mul_f32_e32 v20, 0xbf0a6770, v26
	v_add_f32_e32 v54, v61, v54
	v_mov_b32_e32 v61, v35
	v_fma_f32 v35, v19, s6, -v20
	v_add_f32_e32 v35, v35, v48
	v_mul_f32_e32 v48, 0xbf0a6770, v23
	v_fmac_f32_e32 v20, 0x3f575c64, v19
	v_add_f32_e32 v32, v20, v32
	v_fma_f32 v20, v22, s6, -v48
	v_fmac_f32_e32 v61, 0xbe11bafb, v22
	v_add_f32_e32 v34, v20, v34
	v_mul_f32_e32 v20, 0xbe903f40, v26
	v_add_f32_e32 v56, v61, v56
	v_mov_b32_e32 v61, v48
	v_fma_f32 v48, v19, s14, -v20
	v_add_f32_e32 v48, v48, v55
	v_mul_f32_e32 v55, 0xbe903f40, v23
	v_fmac_f32_e32 v20, 0xbf75a155, v19
	v_fmac_f32_e32 v61, 0x3f575c64, v22
	v_add_f32_e32 v47, v20, v47
	v_fma_f32 v20, v22, s14, -v55
	v_add_f32_e32 v64, v64, v72
	v_add_f32_e32 v58, v61, v58
	v_mov_b32_e32 v61, v55
	v_add_f32_e32 v55, v20, v57
	v_mul_f32_e32 v20, 0x3f68dda4, v26
	v_add_f32_e32 v66, v66, v70
	v_add_f32_e32 v59, v59, v64
	v_fma_f32 v26, v19, s7, -v20
	v_mul_f32_e32 v23, 0x3f68dda4, v23
	v_add_f32_e32 v68, v68, v73
	v_add_f32_e32 v60, v60, v66
	v_fmac_f32_e32 v61, 0xbf75a155, v22
	v_add_f32_e32 v57, v26, v59
	v_mov_b32_e32 v26, v23
	v_fmac_f32_e32 v20, 0x3ed4b147, v19
	v_sub_f32_e32 v67, v24, v25
	v_add_f32_e32 v62, v62, v68
	v_add_f32_e32 v60, v61, v60
	v_fmac_f32_e32 v26, 0x3ed4b147, v22
	v_add_f32_e32 v61, v20, v21
	v_fma_f32 v19, v22, s7, -v23
	v_add_f32_e32 v66, v63, v65
	v_mul_f32_e32 v21, 0xbe903f40, v67
	v_add_f32_e32 v59, v26, v62
	v_add_f32_e32 v62, v19, v18
	v_sub_f32_e32 v63, v63, v65
	v_mov_b32_e32 v19, v21
	v_fma_f32 v21, v66, s14, -v21
	v_add_f32_e32 v64, v24, v25
	v_add_f32_e32 v21, v21, v28
	v_mul_f32_e32 v28, 0xbf4178ce, v63
	v_fmac_f32_e32 v19, 0xbf75a155, v66
	v_mul_f32_e32 v24, 0x3f0a6770, v63
	v_fma_f32 v26, v64, s9, -v28
	v_fmac_f32_e32 v28, 0xbf27a4f4, v64
	v_mul_f32_e32 v20, 0xbe903f40, v63
	v_add_f32_e32 v19, v19, v54
	v_fma_f32 v22, v64, s6, -v24
	v_fmac_f32_e32 v24, 0x3f575c64, v64
	v_add_f32_e32 v28, v28, v32
	v_mul_f32_e32 v32, 0x3f68dda4, v63
	v_lshrrev_b32_e32 v54, 1, v40
	v_fma_f32 v18, v64, s14, -v20
	v_mul_f32_e32 v25, 0x3f0a6770, v67
	v_add_f32_e32 v24, v24, v30
	v_fma_f32 v30, v64, s7, -v32
	v_mul_u32_u24_e32 v54, 22, v54
	v_add_f32_e32 v18, v18, v29
	v_fmac_f32_e32 v20, 0xbf75a155, v64
	v_add_f32_e32 v22, v22, v33
	v_mov_b32_e32 v23, v25
	v_fma_f32 v25, v66, s6, -v25
	v_mul_f32_e32 v29, 0xbf4178ce, v67
	v_add_f32_e32 v30, v30, v48
	v_mul_f32_e32 v33, 0x3f68dda4, v67
	v_fmac_f32_e32 v32, 0x3ed4b147, v64
	v_mul_f32_e32 v48, 0xbf7d64f0, v67
	v_or_b32_e32 v54, v54, v74
	v_add_f32_e32 v20, v20, v27
	v_add_f32_e32 v25, v25, v31
	;; [unrolled: 1-line block ×3, first 2 shown]
	v_mov_b32_e32 v27, v29
	v_fma_f32 v29, v66, s9, -v29
	v_mov_b32_e32 v31, v33
	v_add_f32_e32 v32, v32, v47
	v_mul_f32_e32 v47, 0xbf7d64f0, v63
	v_mov_b32_e32 v35, v48
	v_lshlrev_b32_e32 v54, 3, v54
	v_fmac_f32_e32 v23, 0x3f575c64, v66
	v_fmac_f32_e32 v27, 0xbf27a4f4, v66
	v_add_f32_e32 v29, v29, v34
	v_fmac_f32_e32 v31, 0x3ed4b147, v66
	v_fma_f32 v33, v66, s7, -v33
	v_fma_f32 v34, v64, s8, -v47
	v_fmac_f32_e32 v35, 0xbe11bafb, v66
	v_fmac_f32_e32 v47, 0xbe11bafb, v64
	v_fma_f32 v48, v66, s8, -v48
	v_add3_u32 v54, 0, v54, v50
	v_add_f32_e32 v23, v23, v56
	v_add_f32_e32 v27, v27, v58
	;; [unrolled: 1-line block ×8, first 2 shown]
	ds_write2_b64 v54, v[16:17], v[18:19] offset1:2
	ds_write2_b64 v54, v[22:23], v[26:27] offset0:4 offset1:6
	ds_write2_b64 v54, v[30:31], v[34:35] offset0:8 offset1:10
	;; [unrolled: 1-line block ×4, first 2 shown]
	ds_write_b64 v54, v[20:21] offset:160
	s_and_saveexec_b64 s[4:5], vcc
	s_cbranch_execz .LBB0_22
; %bb.21:
	v_and_b32_e32 v47, 1, v53
	v_mul_u32_u24_e32 v16, 10, v47
	v_lshlrev_b32_e32 v48, 3, v16
	global_load_dwordx4 v[16:19], v48, s[12:13]
	global_load_dwordx4 v[20:23], v48, s[12:13] offset:64
	global_load_dwordx4 v[24:27], v48, s[12:13] offset:16
	global_load_dwordx4 v[28:31], v48, s[12:13] offset:48
	global_load_dwordx4 v[32:35], v48, s[12:13] offset:32
	s_waitcnt vmcnt(4)
	v_mul_f32_e32 v48, v44, v17
	s_waitcnt vmcnt(3)
	v_mul_f32_e32 v54, v46, v23
	v_mul_f32_e32 v23, v45, v23
	;; [unrolled: 1-line block ×6, first 2 shown]
	s_waitcnt vmcnt(0)
	v_mul_f32_e32 v62, v9, v35
	v_fma_f32 v43, v43, v16, -v48
	v_fma_f32 v45, v45, v22, -v54
	v_mul_f32_e32 v21, v14, v21
	v_mul_f32_e32 v57, v7, v25
	;; [unrolled: 1-line block ×4, first 2 shown]
	v_fmac_f32_e32 v17, v44, v16
	v_fma_f32 v16, v4, v18, -v55
	v_fma_f32 v14, v14, v20, -v56
	v_fmac_f32_e32 v19, v5, v18
	v_fma_f32 v18, v8, v34, -v62
	v_sub_f32_e32 v8, v43, v45
	v_mul_f32_e32 v31, v12, v31
	v_mul_f32_e32 v25, v6, v25
	;; [unrolled: 1-line block ×4, first 2 shown]
	v_fmac_f32_e32 v23, v46, v22
	v_fmac_f32_e32 v21, v15, v20
	v_fma_f32 v15, v6, v24, -v57
	v_fma_f32 v12, v12, v30, -v58
	v_fmac_f32_e32 v35, v9, v34
	v_sub_f32_e32 v9, v16, v14
	v_mul_f32_e32 v58, 0xbe903f40, v8
	v_mul_f32_e32 v29, v10, v29
	;; [unrolled: 1-line block ×4, first 2 shown]
	v_fmac_f32_e32 v31, v13, v30
	v_fmac_f32_e32 v25, v7, v24
	v_fma_f32 v13, v0, v26, -v59
	v_fma_f32 v10, v10, v28, -v60
	v_add_f32_e32 v20, v17, v23
	v_sub_f32_e32 v24, v15, v12
	v_mul_f32_e32 v59, 0x3f0a6770, v9
	v_mov_b32_e32 v0, v58
	v_mul_f32_e32 v33, v2, v33
	v_fmac_f32_e32 v29, v11, v28
	v_fmac_f32_e32 v27, v1, v26
	v_fma_f32 v11, v2, v32, -v61
	v_add_f32_e32 v22, v19, v21
	v_sub_f32_e32 v28, v13, v10
	v_sub_f32_e32 v46, v17, v23
	v_mul_f32_e32 v60, 0xbf4178ce, v24
	v_mov_b32_e32 v1, v59
	v_fmac_f32_e32 v0, 0xbf75a155, v20
	v_fmac_f32_e32 v33, v3, v32
	v_add_f32_e32 v26, v25, v31
	v_sub_f32_e32 v32, v11, v18
	v_add_f32_e32 v44, v43, v45
	v_sub_f32_e32 v54, v19, v21
	v_mul_f32_e32 v61, 0x3f68dda4, v28
	v_mul_f32_e32 v63, 0xbe903f40, v46
	v_mov_b32_e32 v2, v60
	v_fmac_f32_e32 v1, 0x3f575c64, v22
	v_add_f32_e32 v0, v42, v0
	v_add_f32_e32 v30, v27, v29
	;; [unrolled: 1-line block ×3, first 2 shown]
	v_sub_f32_e32 v56, v25, v31
	v_mul_f32_e32 v62, 0xbf7d64f0, v32
	v_mul_f32_e32 v64, 0x3f0a6770, v54
	v_mov_b32_e32 v3, v61
	v_fma_f32 v5, v44, s14, -v63
	v_fmac_f32_e32 v2, 0xbf27a4f4, v26
	v_add_f32_e32 v0, v1, v0
	v_add_f32_e32 v34, v33, v35
	;; [unrolled: 1-line block ×3, first 2 shown]
	v_mul_f32_e32 v65, 0xbf4178ce, v56
	v_mov_b32_e32 v4, v62
	v_fma_f32 v6, v48, s6, -v64
	v_fmac_f32_e32 v3, 0x3ed4b147, v30
	v_add_f32_e32 v5, v41, v5
	v_add_f32_e32 v0, v2, v0
	v_sub_f32_e32 v66, v27, v29
	v_add_f32_e32 v57, v13, v10
	v_fma_f32 v7, v55, s9, -v65
	v_fmac_f32_e32 v4, 0xbe11bafb, v34
	v_add_f32_e32 v5, v6, v5
	v_add_f32_e32 v0, v3, v0
	v_mul_f32_e32 v67, 0x3f68dda4, v66
	v_sub_f32_e32 v69, v33, v35
	v_add_f32_e32 v5, v7, v5
	v_add_f32_e32 v1, v4, v0
	v_fma_f32 v0, v57, s7, -v67
	v_add_f32_e32 v68, v11, v18
	v_mul_f32_e32 v70, 0xbf7d64f0, v69
	v_add_f32_e32 v0, v0, v5
	v_fma_f32 v2, v68, s8, -v70
	v_mul_f32_e32 v71, 0xbf4178ce, v8
	v_add_f32_e32 v0, v2, v0
	v_mov_b32_e32 v2, v71
	v_mul_f32_e32 v72, 0x3f7d64f0, v9
	v_fmac_f32_e32 v2, 0xbf27a4f4, v20
	v_mov_b32_e32 v3, v72
	v_add_f32_e32 v2, v42, v2
	v_fmac_f32_e32 v3, 0xbe11bafb, v22
	v_mul_f32_e32 v73, 0xbf0a6770, v24
	v_add_f32_e32 v2, v3, v2
	v_mov_b32_e32 v3, v73
	v_fmac_f32_e32 v3, 0x3f575c64, v26
	v_mul_f32_e32 v74, 0xbe903f40, v28
	v_add_f32_e32 v2, v3, v2
	v_mov_b32_e32 v3, v74
	v_fmac_f32_e32 v3, 0xbf75a155, v30
	v_mul_f32_e32 v75, 0x3f68dda4, v32
	v_add_f32_e32 v2, v3, v2
	v_mov_b32_e32 v3, v75
	v_fmac_f32_e32 v3, 0x3ed4b147, v34
	v_mul_f32_e32 v76, 0xbf4178ce, v46
	v_add_f32_e32 v3, v3, v2
	v_fma_f32 v2, v44, s9, -v76
	v_mul_f32_e32 v77, 0x3f7d64f0, v54
	v_add_f32_e32 v2, v41, v2
	v_fma_f32 v4, v48, s8, -v77
	;; [unrolled: 3-line block ×5, first 2 shown]
	v_mul_f32_e32 v81, 0xbf7d64f0, v8
	v_add_f32_e32 v2, v4, v2
	v_mov_b32_e32 v4, v81
	v_mul_f32_e32 v82, 0x3e903f40, v9
	v_fmac_f32_e32 v4, 0xbe11bafb, v20
	v_mov_b32_e32 v5, v82
	v_add_f32_e32 v4, v42, v4
	v_fmac_f32_e32 v5, 0xbf75a155, v22
	v_mul_f32_e32 v83, 0x3f68dda4, v24
	v_add_f32_e32 v4, v5, v4
	v_mov_b32_e32 v5, v83
	v_fmac_f32_e32 v5, 0x3ed4b147, v26
	v_mul_f32_e32 v84, 0xbf0a6770, v28
	v_add_f32_e32 v4, v5, v4
	v_mov_b32_e32 v5, v84
	v_fmac_f32_e32 v5, 0x3f575c64, v30
	v_mul_f32_e32 v85, 0xbf7d64f0, v46
	v_add_f32_e32 v4, v5, v4
	v_fma_f32 v5, v44, s8, -v85
	v_mul_f32_e32 v86, 0x3e903f40, v54
	v_add_f32_e32 v5, v41, v5
	v_fma_f32 v6, v48, s14, -v86
	;; [unrolled: 3-line block ×4, first 2 shown]
	v_mul_f32_e32 v89, 0xbf4178ce, v32
	v_add_f32_e32 v6, v6, v5
	v_mov_b32_e32 v5, v89
	v_fmac_f32_e32 v5, 0xbf27a4f4, v34
	v_mul_f32_e32 v90, 0xbf4178ce, v69
	v_add_f32_e32 v5, v5, v4
	v_fma_f32 v4, v68, s9, -v90
	v_mul_f32_e32 v91, 0xbf68dda4, v8
	v_add_f32_e32 v4, v4, v6
	v_mov_b32_e32 v6, v91
	v_mul_f32_e32 v92, 0xbf4178ce, v9
	v_fmac_f32_e32 v6, 0x3ed4b147, v20
	v_mov_b32_e32 v7, v92
	v_add_f32_e32 v6, v42, v6
	v_fmac_f32_e32 v7, 0xbf27a4f4, v22
	v_mul_f32_e32 v93, 0x3e903f40, v24
	v_add_f32_e32 v6, v7, v6
	v_mov_b32_e32 v7, v93
	v_fmac_f32_e32 v7, 0xbf75a155, v26
	v_mul_f32_e32 v94, 0x3f7d64f0, v28
	v_add_f32_e32 v6, v7, v6
	v_mov_b32_e32 v7, v94
	v_fmac_f32_e32 v7, 0xbe11bafb, v30
	v_mul_f32_e32 v95, 0xbf68dda4, v46
	v_add_f32_e32 v6, v7, v6
	v_fma_f32 v7, v44, s7, -v95
	v_mul_f32_e32 v96, 0xbf4178ce, v54
	v_add_f32_e32 v7, v41, v7
	v_fma_f32 v97, v48, s9, -v96
	v_add_f32_e32 v7, v97, v7
	v_mul_f32_e32 v97, 0x3e903f40, v56
	v_add_f32_e32 v17, v42, v17
	v_fma_f32 v98, v55, s14, -v97
	v_add_f32_e32 v17, v17, v19
	v_add_f32_e32 v19, v41, v43
	;; [unrolled: 1-line block ×3, first 2 shown]
	v_mul_f32_e32 v98, 0x3f7d64f0, v66
	v_add_f32_e32 v16, v19, v16
	v_fma_f32 v99, v57, s8, -v98
	v_mul_f32_e32 v100, 0x3f0a6770, v32
	v_add_f32_e32 v15, v16, v15
	v_add_f32_e32 v99, v99, v7
	v_mov_b32_e32 v7, v100
	v_add_f32_e32 v13, v15, v13
	v_fmac_f32_e32 v7, 0x3f575c64, v34
	v_mul_f32_e32 v101, 0x3f0a6770, v69
	v_add_f32_e32 v11, v13, v11
	v_add_f32_e32 v7, v7, v6
	v_fma_f32 v6, v68, s6, -v101
	v_add_f32_e32 v11, v11, v18
	v_add_f32_e32 v6, v6, v99
	v_mul_f32_e32 v99, 0xbf0a6770, v8
	v_add_f32_e32 v10, v11, v10
	v_mov_b32_e32 v8, v99
	v_mul_f32_e32 v102, 0xbf68dda4, v9
	v_add_f32_e32 v17, v17, v25
	v_add_f32_e32 v10, v10, v12
	v_fma_f32 v12, v20, s14, -v58
	v_fmac_f32_e32 v8, 0x3f575c64, v20
	v_mov_b32_e32 v9, v102
	v_add_f32_e32 v17, v17, v27
	v_add_f32_e32 v12, v42, v12
	v_fma_f32 v13, v22, s6, -v59
	v_add_f32_e32 v8, v42, v8
	v_fmac_f32_e32 v9, 0x3ed4b147, v22
	v_mul_f32_e32 v24, 0xbf7d64f0, v24
	v_add_f32_e32 v17, v17, v33
	v_add_f32_e32 v12, v13, v12
	v_fma_f32 v13, v26, s9, -v60
	v_add_f32_e32 v8, v9, v8
	v_mov_b32_e32 v9, v24
	v_add_f32_e32 v17, v17, v35
	v_add_f32_e32 v12, v13, v12
	v_fma_f32 v13, v30, s7, -v61
	v_fmac_f32_e32 v63, 0xbf75a155, v44
	v_fmac_f32_e32 v9, 0xbe11bafb, v26
	v_mul_f32_e32 v28, 0xbf4178ce, v28
	v_add_f32_e32 v17, v17, v29
	v_add_f32_e32 v12, v13, v12
	;; [unrolled: 1-line block ×3, first 2 shown]
	v_fmac_f32_e32 v64, 0x3f575c64, v48
	v_add_f32_e32 v8, v9, v8
	v_mov_b32_e32 v9, v28
	v_add_f32_e32 v17, v17, v31
	v_add_f32_e32 v10, v10, v14
	;; [unrolled: 1-line block ×3, first 2 shown]
	v_fma_f32 v13, v34, s8, -v62
	v_fmac_f32_e32 v65, 0xbf27a4f4, v55
	v_fmac_f32_e32 v9, 0xbf27a4f4, v30
	v_mul_f32_e32 v46, 0xbf0a6770, v46
	v_add_f32_e32 v17, v17, v21
	v_add_f32_e32 v13, v13, v12
	;; [unrolled: 1-line block ×3, first 2 shown]
	v_fma_f32 v14, v20, s9, -v71
	v_fma_f32 v16, v20, s8, -v81
	v_fma_f32 v18, v20, s7, -v91
	v_fma_f32 v20, v20, s6, -v99
	v_add_f32_e32 v8, v9, v8
	v_fma_f32 v9, v44, s6, -v46
	v_mul_f32_e32 v54, 0xbf68dda4, v54
	v_add_f32_e32 v11, v17, v23
	v_add_f32_e32 v14, v42, v14
	v_fma_f32 v15, v22, s8, -v72
	v_add_f32_e32 v16, v42, v16
	v_fma_f32 v17, v22, s14, -v82
	;; [unrolled: 2-line block ×5, first 2 shown]
	v_mul_f32_e32 v56, 0xbf7d64f0, v56
	v_add_f32_e32 v14, v15, v14
	v_fma_f32 v15, v26, s6, -v73
	v_add_f32_e32 v16, v17, v16
	v_fma_f32 v17, v26, s7, -v83
	;; [unrolled: 2-line block ×5, first 2 shown]
	v_mul_f32_e32 v66, 0xbf4178ce, v66
	v_mul_f32_e32 v32, 0xbe903f40, v32
	v_add_f32_e32 v14, v15, v14
	v_fma_f32 v15, v30, s14, -v74
	v_add_f32_e32 v16, v17, v16
	v_fma_f32 v17, v30, s6, -v84
	;; [unrolled: 2-line block ×6, first 2 shown]
	v_fmac_f32_e32 v76, 0xbf27a4f4, v44
	v_add_f32_e32 v16, v17, v16
	v_fma_f32 v17, v34, s9, -v89
	v_fmac_f32_e32 v85, 0xbe11bafb, v44
	v_add_f32_e32 v18, v19, v18
	v_fma_f32 v19, v34, s6, -v100
	;; [unrolled: 3-line block ×3, first 2 shown]
	v_fmac_f32_e32 v46, 0x3f575c64, v44
	v_lshrrev_b32_e32 v22, 1, v53
	v_add_f32_e32 v103, v103, v9
	v_mov_b32_e32 v9, v32
	v_add_f32_e32 v15, v15, v14
	v_add_f32_e32 v14, v41, v76
	v_fmac_f32_e32 v77, 0xbe11bafb, v48
	v_add_f32_e32 v17, v17, v16
	v_add_f32_e32 v16, v41, v85
	v_fmac_f32_e32 v86, 0xbf75a155, v48
	;; [unrolled: 3-line block ×4, first 2 shown]
	v_mul_u32_u24_e32 v22, 22, v22
	v_fmac_f32_e32 v9, 0xbf75a155, v34
	v_mul_f32_e32 v69, 0xbe903f40, v69
	v_add_f32_e32 v14, v77, v14
	v_fmac_f32_e32 v78, 0x3f575c64, v55
	v_add_f32_e32 v16, v86, v16
	v_fmac_f32_e32 v87, 0x3ed4b147, v55
	;; [unrolled: 2-line block ×4, first 2 shown]
	v_or_b32_e32 v22, v22, v47
	v_add_f32_e32 v9, v9, v8
	v_fma_f32 v8, v68, s14, -v69
	v_fmac_f32_e32 v67, 0x3ed4b147, v57
	v_add_f32_e32 v14, v78, v14
	v_fmac_f32_e32 v79, 0xbf75a155, v57
	v_add_f32_e32 v16, v87, v16
	;; [unrolled: 2-line block ×4, first 2 shown]
	v_fmac_f32_e32 v66, 0xbf27a4f4, v57
	v_lshlrev_b32_e32 v22, 3, v22
	v_add_f32_e32 v8, v8, v103
	v_add_f32_e32 v10, v10, v45
	;; [unrolled: 1-line block ×3, first 2 shown]
	v_fmac_f32_e32 v70, 0xbe11bafb, v68
	v_add_f32_e32 v14, v79, v14
	v_fmac_f32_e32 v80, 0x3ed4b147, v68
	v_add_f32_e32 v16, v88, v16
	;; [unrolled: 2-line block ×4, first 2 shown]
	v_fmac_f32_e32 v69, 0xbf75a155, v68
	v_add3_u32 v22, 0, v22, v50
	v_add_f32_e32 v12, v70, v12
	v_add_f32_e32 v14, v80, v14
	;; [unrolled: 1-line block ×5, first 2 shown]
	ds_write2_b64 v22, v[10:11], v[8:9] offset1:2
	ds_write2_b64 v22, v[6:7], v[4:5] offset0:4 offset1:6
	ds_write2_b64 v22, v[2:3], v[0:1] offset0:8 offset1:10
	;; [unrolled: 1-line block ×4, first 2 shown]
	ds_write_b64 v22, v[20:21] offset:160
.LBB0_22:
	s_or_b64 exec, exec, s[4:5]
	v_lshrrev_b16_e32 v0, 1, v40
	v_and_b32_e32 v0, 0x7f, v0
	v_mul_lo_u16_e32 v0, 0xbb, v0
	v_lshrrev_b16_e32 v35, 11, v0
	v_lshrrev_b16_e32 v2, 1, v53
	v_mul_lo_u16_e32 v0, 22, v35
	v_and_b32_e32 v2, 0x7f, v2
	v_sub_u16_e32 v65, v40, v0
	v_mov_b32_e32 v0, 6
	v_mul_lo_u16_e32 v2, 0xbb, v2
	v_mul_u32_u24_sdwa v1, v65, v0 dst_sel:DWORD dst_unused:UNUSED_PAD src0_sel:BYTE_0 src1_sel:DWORD
	v_lshrrev_b16_e32 v66, 11, v2
	v_lshlrev_b32_e32 v1, 3, v1
	v_mul_lo_u16_e32 v2, 22, v66
	s_waitcnt lgkmcnt(0)
	s_barrier
	global_load_dwordx4 v[3:6], v1, s[12:13] offset:160
	global_load_dwordx4 v[7:10], v1, s[12:13] offset:176
	global_load_dwordx4 v[11:14], v1, s[12:13] offset:192
	v_sub_u16_e32 v67, v53, v2
	v_mul_u32_u24_sdwa v0, v67, v0 dst_sel:DWORD dst_unused:UNUSED_PAD src0_sel:BYTE_0 src1_sel:DWORD
	v_lshlrev_b32_e32 v0, 3, v0
	global_load_dwordx4 v[15:18], v0, s[12:13] offset:160
	global_load_dwordx4 v[19:22], v0, s[12:13] offset:176
	;; [unrolled: 1-line block ×3, first 2 shown]
	ds_read2_b64 v[27:30], v52 offset0:77 offset1:154
	v_add_u32_e32 v2, 0x400, v52
	v_add_u32_e32 v68, 0x800, v52
	;; [unrolled: 1-line block ×5, first 2 shown]
	ds_read_b64 v[61:62], v51
	ds_read_b64 v[63:64], v52 offset:8008
	ds_read2_b64 v[31:34], v2 offset0:103 offset1:180
	ds_read2_b64 v[41:44], v68 offset0:129 offset1:206
	ds_read2_b64 v[45:48], v1 offset0:27 offset1:104
	ds_read2_b64 v[53:56], v69 offset0:53 offset1:130
	ds_read2_b64 v[57:60], v0 offset0:79 offset1:156
	s_mov_b32 s4, 0x3f5ff5aa
	s_mov_b32 s6, 0x3f3bfb3b
	;; [unrolled: 1-line block ×4, first 2 shown]
	s_movk_i32 s8, 0x4d0
	s_waitcnt vmcnt(0) lgkmcnt(0)
	s_barrier
	v_mul_f32_e32 v70, v4, v30
	v_mul_f32_e32 v4, v4, v29
	;; [unrolled: 1-line block ×14, first 2 shown]
	v_fma_f32 v29, v3, v29, -v70
	v_fmac_f32_e32 v4, v3, v30
	v_fma_f32 v3, v5, v33, -v71
	v_fmac_f32_e32 v6, v5, v34
	;; [unrolled: 2-line block ×6, first 2 shown]
	v_mul_f32_e32 v16, v42, v18
	v_fma_f32 v30, v31, v15, -v76
	v_fmac_f32_e32 v77, v32, v15
	v_add_f32_e32 v13, v29, v11
	v_add_f32_e32 v15, v4, v14
	v_sub_f32_e32 v4, v4, v14
	v_add_f32_e32 v14, v3, v9
	v_fma_f32 v31, v41, v17, -v16
	v_add_f32_e32 v16, v6, v12
	v_sub_f32_e32 v3, v3, v9
	v_sub_f32_e32 v6, v6, v12
	v_add_f32_e32 v9, v5, v7
	v_add_f32_e32 v12, v8, v10
	v_sub_f32_e32 v5, v7, v5
	v_sub_f32_e32 v7, v10, v8
	v_add_f32_e32 v8, v14, v13
	v_mul_f32_e32 v18, v41, v18
	v_mul_f32_e32 v78, v46, v20
	;; [unrolled: 1-line block ×9, first 2 shown]
	v_sub_f32_e32 v11, v29, v11
	v_add_f32_e32 v10, v16, v15
	v_add_f32_e32 v8, v9, v8
	v_fmac_f32_e32 v18, v42, v17
	v_fma_f32 v17, v45, v19, -v78
	v_fmac_f32_e32 v20, v46, v19
	v_fma_f32 v19, v53, v21, -v79
	v_fmac_f32_e32 v22, v54, v21
	v_fma_f32 v21, v57, v23, -v80
	v_fmac_f32_e32 v24, v58, v23
	v_fma_f32 v23, v63, v25, -v81
	v_fmac_f32_e32 v26, v64, v25
	v_sub_f32_e32 v25, v14, v13
	v_sub_f32_e32 v13, v13, v9
	;; [unrolled: 1-line block ×3, first 2 shown]
	v_add_f32_e32 v32, v5, v3
	v_add_f32_e32 v33, v7, v6
	v_sub_f32_e32 v34, v5, v3
	v_sub_f32_e32 v42, v3, v11
	v_add_f32_e32 v9, v12, v10
	v_add_f32_e32 v3, v8, v61
	v_sub_f32_e32 v29, v16, v15
	v_sub_f32_e32 v15, v15, v12
	;; [unrolled: 1-line block ×7, first 2 shown]
	v_add_f32_e32 v10, v32, v11
	v_add_f32_e32 v11, v33, v4
	;; [unrolled: 1-line block ×3, first 2 shown]
	v_mov_b32_e32 v44, v3
	v_mul_f32_e32 v12, 0x3f4a47b2, v13
	v_mul_f32_e32 v13, 0x3f4a47b2, v15
	;; [unrolled: 1-line block ×7, first 2 shown]
	v_fmac_f32_e32 v44, 0xbf955555, v8
	v_mov_b32_e32 v8, v4
	v_mul_f32_e32 v43, 0x3f5ff5aa, v6
	v_fmac_f32_e32 v8, 0xbf955555, v9
	v_fma_f32 v9, v25, s6, -v15
	v_fma_f32 v15, v29, s6, -v32
	;; [unrolled: 1-line block ×3, first 2 shown]
	v_fmac_f32_e32 v12, 0x3d64c772, v14
	v_fma_f32 v14, v29, s5, -v13
	v_fmac_f32_e32 v13, 0x3d64c772, v16
	v_fma_f32 v29, v6, s4, -v34
	v_fma_f32 v32, v5, s7, -v41
	;; [unrolled: 1-line block ×3, first 2 shown]
	v_fmac_f32_e32 v34, 0x3eae86e6, v7
	v_fma_f32 v41, v7, s7, -v43
	v_add_f32_e32 v42, v12, v44
	v_add_f32_e32 v43, v13, v8
	;; [unrolled: 1-line block ×6, first 2 shown]
	v_fmac_f32_e32 v29, 0x3ee1c552, v11
	v_fmac_f32_e32 v32, 0x3ee1c552, v10
	v_add_f32_e32 v25, v30, v23
	v_sub_f32_e32 v23, v30, v23
	v_add_f32_e32 v30, v31, v21
	v_fmac_f32_e32 v33, 0x3eae86e6, v5
	v_fmac_f32_e32 v34, 0x3ee1c552, v11
	;; [unrolled: 1-line block ×3, first 2 shown]
	v_sub_f32_e32 v8, v14, v32
	v_sub_f32_e32 v9, v12, v29
	v_add_f32_e32 v11, v29, v12
	v_add_f32_e32 v14, v32, v14
	;; [unrolled: 1-line block ×4, first 2 shown]
	v_sub_f32_e32 v21, v31, v21
	v_sub_f32_e32 v18, v18, v24
	v_add_f32_e32 v24, v17, v19
	v_add_f32_e32 v31, v20, v22
	v_sub_f32_e32 v17, v19, v17
	v_sub_f32_e32 v19, v22, v20
	v_add_f32_e32 v20, v30, v25
	v_fmac_f32_e32 v33, 0x3ee1c552, v10
	v_fmac_f32_e32 v16, 0x3ee1c552, v10
	v_add_f32_e32 v22, v32, v29
	v_add_f32_e32 v20, v24, v20
	v_sub_f32_e32 v6, v43, v33
	v_add_f32_e32 v7, v41, v15
	v_add_f32_e32 v10, v16, v13
	v_sub_f32_e32 v12, v13, v16
	v_sub_f32_e32 v13, v15, v41
	v_add_f32_e32 v16, v33, v43
	v_sub_f32_e32 v26, v77, v26
	v_add_f32_e32 v41, v17, v21
	v_sub_f32_e32 v43, v17, v21
	v_sub_f32_e32 v45, v23, v17
	v_add_f32_e32 v22, v31, v22
	v_add_f32_e32 v17, v20, v27
	;; [unrolled: 1-line block ×3, first 2 shown]
	v_sub_f32_e32 v15, v42, v34
	v_sub_f32_e32 v33, v30, v25
	;; [unrolled: 1-line block ×7, first 2 shown]
	v_add_f32_e32 v42, v19, v18
	v_sub_f32_e32 v44, v19, v18
	v_sub_f32_e32 v46, v18, v26
	v_add_f32_e32 v18, v22, v28
	v_mul_f32_e32 v31, 0xbf08b237, v43
	v_mov_b32_e32 v43, v17
	v_sub_f32_e32 v19, v26, v19
	v_sub_f32_e32 v21, v21, v23
	v_add_f32_e32 v24, v42, v26
	v_mul_f32_e32 v25, 0x3f4a47b2, v25
	v_mul_f32_e32 v26, 0x3f4a47b2, v29
	;; [unrolled: 1-line block ×4, first 2 shown]
	v_fmac_f32_e32 v43, 0xbf955555, v20
	v_mov_b32_e32 v20, v18
	v_add_f32_e32 v23, v41, v23
	v_mul_f32_e32 v29, 0xbf08b237, v44
	v_mul_f32_e32 v41, 0x3f5ff5aa, v21
	;; [unrolled: 1-line block ×3, first 2 shown]
	v_fmac_f32_e32 v20, 0xbf955555, v22
	v_fma_f32 v22, v33, s6, -v27
	v_fma_f32 v27, v34, s6, -v28
	;; [unrolled: 1-line block ×3, first 2 shown]
	v_fmac_f32_e32 v25, 0x3d64c772, v30
	v_fma_f32 v30, v34, s5, -v26
	v_fmac_f32_e32 v26, 0x3d64c772, v32
	v_fma_f32 v32, v21, s4, -v31
	v_fmac_f32_e32 v31, 0x3eae86e6, v45
	v_fma_f32 v33, v46, s4, -v29
	v_fmac_f32_e32 v29, 0x3eae86e6, v19
	v_fma_f32 v34, v45, s7, -v41
	v_fma_f32 v41, v19, s7, -v42
	v_add_f32_e32 v44, v26, v20
	v_add_f32_e32 v26, v27, v20
	v_fmac_f32_e32 v32, 0x3ee1c552, v23
	v_add_f32_e32 v42, v25, v43
	v_add_f32_e32 v25, v22, v43
	v_fmac_f32_e32 v31, 0x3ee1c552, v23
	v_fmac_f32_e32 v29, 0x3ee1c552, v24
	;; [unrolled: 1-line block ×4, first 2 shown]
	v_add_f32_e32 v24, v32, v26
	v_sub_f32_e32 v26, v26, v32
	v_mov_b32_e32 v32, 3
	v_add_f32_e32 v27, v28, v43
	v_add_f32_e32 v28, v30, v20
	v_fmac_f32_e32 v34, 0x3ee1c552, v23
	v_sub_f32_e32 v20, v44, v31
	v_sub_f32_e32 v23, v25, v33
	v_add_f32_e32 v25, v33, v25
	v_add_f32_e32 v30, v31, v44
	v_mad_u32_u24 v31, v35, s8, 0
	v_lshlrev_b32_sdwa v33, v32, v65 dst_sel:DWORD dst_unused:UNUSED_PAD src0_sel:DWORD src1_sel:BYTE_0
	v_add3_u32 v31, v31, v33, v50
	ds_write2_b64 v31, v[3:4], v[5:6] offset1:22
	ds_write2_b64 v31, v[7:8], v[9:10] offset0:44 offset1:66
	ds_write2_b64 v31, v[11:12], v[13:14] offset0:88 offset1:110
	ds_write_b64 v31, v[15:16] offset:1056
	v_mad_u32_u24 v3, v66, s8, 0
	v_lshlrev_b32_sdwa v4, v32, v67 dst_sel:DWORD dst_unused:UNUSED_PAD src0_sel:DWORD src1_sel:BYTE_0
	v_add_f32_e32 v19, v29, v42
	v_add3_u32 v3, v3, v4, v50
	v_add_f32_e32 v21, v41, v27
	v_sub_f32_e32 v22, v28, v34
	v_sub_f32_e32 v27, v27, v41
	v_add_f32_e32 v28, v34, v28
	v_sub_f32_e32 v29, v42, v29
	ds_write2_b64 v3, v[17:18], v[19:20] offset1:22
	ds_write2_b64 v3, v[21:22], v[23:24] offset0:44 offset1:66
	ds_write2_b64 v3, v[25:26], v[27:28] offset0:88 offset1:110
	ds_write_b64 v3, v[29:30] offset:1056
	v_mul_u32_u24_e32 v3, 6, v40
	v_lshlrev_b32_e32 v15, 3, v3
	s_waitcnt lgkmcnt(0)
	s_barrier
	global_load_dwordx4 v[3:6], v15, s[12:13] offset:1216
	global_load_dwordx4 v[7:10], v15, s[12:13] offset:1232
	v_mov_b32_e32 v16, s13
	v_add_co_u32_e32 v19, vcc, s12, v15
	s_movk_i32 s8, 0x1000
	v_addc_co_u32_e32 v20, vcc, 0, v16, vcc
	global_load_dwordx4 v[11:14], v15, s[12:13] offset:1248
	v_add_co_u32_e32 v15, vcc, s8, v19
	v_addc_co_u32_e32 v16, vcc, 0, v20, vcc
	global_load_dwordx4 v[15:18], v[15:16], off offset:816
	s_movk_i32 s8, 0x1330
	v_add_co_u32_e32 v27, vcc, s8, v19
	v_addc_co_u32_e32 v28, vcc, 0, v20, vcc
	global_load_dwordx4 v[19:22], v[27:28], off offset:16
	global_load_dwordx4 v[23:26], v[27:28], off offset:32
	ds_read2_b64 v[27:30], v52 offset0:77 offset1:154
	ds_read2_b64 v[31:34], v2 offset0:103 offset1:180
	;; [unrolled: 1-line block ×6, first 2 shown]
	ds_read_b64 v[50:51], v51
	ds_read_b64 v[61:62], v52 offset:8008
	s_waitcnt vmcnt(0) lgkmcnt(0)
	s_barrier
	v_mul_f32_e32 v35, v4, v30
	v_mul_f32_e32 v4, v4, v29
	v_fma_f32 v35, v3, v29, -v35
	v_fmac_f32_e32 v4, v3, v30
	v_mul_f32_e32 v3, v6, v34
	v_mul_f32_e32 v6, v6, v33
	v_fma_f32 v3, v5, v33, -v3
	v_fmac_f32_e32 v6, v5, v34
	;; [unrolled: 4-line block ×6, first 2 shown]
	v_mul_f32_e32 v13, v32, v16
	v_fma_f32 v29, v31, v15, -v13
	v_mul_f32_e32 v13, v42, v18
	v_mul_f32_e32 v30, v31, v16
	v_fma_f32 v31, v41, v17, -v13
	v_mul_f32_e32 v18, v41, v18
	v_mul_f32_e32 v13, v46, v20
	v_fmac_f32_e32 v18, v42, v17
	v_fma_f32 v17, v45, v19, -v13
	v_mul_f32_e32 v20, v45, v20
	v_mul_f32_e32 v13, v54, v22
	v_fmac_f32_e32 v20, v46, v19
	;; [unrolled: 4-line block ×4, first 2 shown]
	v_fmac_f32_e32 v24, v58, v23
	v_fma_f32 v23, v61, v25, -v13
	v_add_f32_e32 v13, v35, v11
	v_add_f32_e32 v15, v4, v14
	v_sub_f32_e32 v4, v4, v14
	v_add_f32_e32 v14, v3, v9
	v_add_f32_e32 v16, v6, v12
	v_sub_f32_e32 v3, v3, v9
	v_sub_f32_e32 v6, v6, v12
	v_add_f32_e32 v9, v5, v7
	v_add_f32_e32 v12, v8, v10
	v_sub_f32_e32 v5, v7, v5
	v_sub_f32_e32 v7, v10, v8
	v_add_f32_e32 v8, v14, v13
	v_mul_f32_e32 v26, v61, v26
	v_sub_f32_e32 v11, v35, v11
	v_add_f32_e32 v10, v16, v15
	v_add_f32_e32 v8, v9, v8
	v_fmac_f32_e32 v26, v62, v25
	v_sub_f32_e32 v25, v14, v13
	v_sub_f32_e32 v13, v13, v9
	;; [unrolled: 1-line block ×3, first 2 shown]
	v_add_f32_e32 v33, v5, v3
	v_add_f32_e32 v34, v7, v6
	v_sub_f32_e32 v35, v5, v3
	v_sub_f32_e32 v42, v3, v11
	v_add_f32_e32 v9, v12, v10
	v_add_f32_e32 v3, v8, v50
	v_sub_f32_e32 v32, v16, v15
	v_sub_f32_e32 v15, v15, v12
	;; [unrolled: 1-line block ×7, first 2 shown]
	v_add_f32_e32 v10, v33, v11
	v_add_f32_e32 v11, v34, v4
	;; [unrolled: 1-line block ×3, first 2 shown]
	v_mov_b32_e32 v44, v3
	v_mul_f32_e32 v12, 0x3f4a47b2, v13
	v_mul_f32_e32 v13, 0x3f4a47b2, v15
	;; [unrolled: 1-line block ×6, first 2 shown]
	v_fmac_f32_e32 v44, 0xbf955555, v8
	v_mov_b32_e32 v8, v4
	v_mul_f32_e32 v41, 0x3f5ff5aa, v42
	v_mul_f32_e32 v43, 0x3f5ff5aa, v6
	v_fmac_f32_e32 v8, 0xbf955555, v9
	v_fma_f32 v9, v25, s6, -v15
	v_fma_f32 v15, v32, s6, -v33
	;; [unrolled: 1-line block ×3, first 2 shown]
	v_fmac_f32_e32 v12, 0x3d64c772, v14
	v_fma_f32 v14, v32, s5, -v13
	v_fmac_f32_e32 v13, 0x3d64c772, v16
	v_fma_f32 v32, v6, s4, -v35
	v_fma_f32 v16, v42, s4, -v34
	v_fmac_f32_e32 v35, 0x3eae86e6, v7
	v_fma_f32 v33, v5, s7, -v41
	v_fma_f32 v41, v7, s7, -v43
	v_add_f32_e32 v42, v12, v44
	v_add_f32_e32 v43, v13, v8
	;; [unrolled: 1-line block ×5, first 2 shown]
	v_fmac_f32_e32 v32, 0x3ee1c552, v11
	v_add_f32_e32 v25, v29, v23
	v_sub_f32_e32 v23, v29, v23
	v_add_f32_e32 v29, v31, v21
	v_fmac_f32_e32 v35, 0x3ee1c552, v11
	v_fmac_f32_e32 v41, 0x3ee1c552, v11
	v_sub_f32_e32 v9, v12, v32
	v_add_f32_e32 v11, v32, v12
	v_add_f32_e32 v32, v30, v26
	v_sub_f32_e32 v26, v30, v26
	v_add_f32_e32 v30, v18, v24
	v_sub_f32_e32 v21, v31, v21
	v_sub_f32_e32 v18, v18, v24
	v_add_f32_e32 v24, v17, v19
	v_add_f32_e32 v31, v20, v22
	v_sub_f32_e32 v17, v19, v17
	v_sub_f32_e32 v19, v22, v20
	v_add_f32_e32 v20, v29, v25
	v_fmac_f32_e32 v34, 0x3eae86e6, v5
	v_fmac_f32_e32 v16, 0x3ee1c552, v10
	v_add_f32_e32 v22, v30, v32
	v_add_f32_e32 v20, v24, v20
	;; [unrolled: 1-line block ×3, first 2 shown]
	v_fmac_f32_e32 v34, 0x3ee1c552, v10
	v_fmac_f32_e32 v33, 0x3ee1c552, v10
	v_add_f32_e32 v5, v35, v42
	v_add_f32_e32 v7, v41, v15
	;; [unrolled: 1-line block ×3, first 2 shown]
	v_sub_f32_e32 v12, v13, v16
	v_sub_f32_e32 v13, v15, v41
	;; [unrolled: 1-line block ×3, first 2 shown]
	v_add_f32_e32 v35, v17, v21
	v_sub_f32_e32 v42, v17, v21
	v_sub_f32_e32 v44, v23, v17
	v_add_f32_e32 v22, v31, v22
	v_add_f32_e32 v17, v20, v27
	v_sub_f32_e32 v6, v43, v34
	v_sub_f32_e32 v8, v14, v33
	v_add_f32_e32 v14, v33, v14
	v_add_f32_e32 v16, v34, v43
	v_sub_f32_e32 v33, v29, v25
	v_sub_f32_e32 v34, v30, v32
	;; [unrolled: 1-line block ×6, first 2 shown]
	v_add_f32_e32 v41, v19, v18
	v_sub_f32_e32 v43, v19, v18
	v_sub_f32_e32 v21, v21, v23
	v_sub_f32_e32 v45, v18, v26
	v_add_f32_e32 v18, v22, v28
	v_mul_f32_e32 v31, 0xbf08b237, v42
	v_mov_b32_e32 v42, v17
	v_sub_f32_e32 v19, v26, v19
	v_add_f32_e32 v23, v35, v23
	v_add_f32_e32 v24, v41, v26
	v_mul_f32_e32 v25, 0x3f4a47b2, v25
	v_mul_f32_e32 v26, 0x3f4a47b2, v32
	;; [unrolled: 1-line block ×7, first 2 shown]
	v_fmac_f32_e32 v42, 0xbf955555, v20
	v_mov_b32_e32 v20, v18
	v_fmac_f32_e32 v20, 0xbf955555, v22
	v_fma_f32 v22, v33, s6, -v27
	v_fma_f32 v27, v34, s6, -v28
	v_fma_f32 v28, v33, s5, -v25
	v_fmac_f32_e32 v25, 0x3d64c772, v29
	v_fma_f32 v29, v34, s5, -v26
	v_fmac_f32_e32 v26, 0x3d64c772, v30
	v_fma_f32 v30, v21, s4, -v31
	;; [unrolled: 2-line block ×4, first 2 shown]
	v_fma_f32 v35, v19, s7, -v41
	v_add_f32_e32 v41, v25, v42
	v_add_f32_e32 v43, v26, v20
	;; [unrolled: 1-line block ×5, first 2 shown]
	v_fmac_f32_e32 v31, 0x3ee1c552, v23
	v_fmac_f32_e32 v32, 0x3ee1c552, v24
	;; [unrolled: 1-line block ×4, first 2 shown]
	ds_write2_b64 v2, v[5:6], v[7:8] offset0:26 offset1:180
	v_add_u32_e32 v2, 0xc00, v52
	v_add_f32_e32 v25, v22, v42
	v_fmac_f32_e32 v30, 0x3ee1c552, v23
	v_fmac_f32_e32 v33, 0x3ee1c552, v24
	v_add_f32_e32 v19, v32, v41
	v_sub_f32_e32 v20, v43, v31
	v_add_f32_e32 v21, v35, v27
	v_sub_f32_e32 v22, v28, v34
	ds_write2_b64 v2, v[9:10], v[11:12] offset0:78 offset1:232
	ds_write2_b64 v0, v[13:14], v[15:16] offset0:2 offset1:156
	ds_write2_b64 v52, v[3:4], v[17:18] offset1:77
	v_add_u32_e32 v2, 0x600, v52
	v_sub_f32_e32 v23, v25, v33
	v_add_f32_e32 v24, v30, v26
	v_add_f32_e32 v25, v33, v25
	v_sub_f32_e32 v26, v26, v30
	v_sub_f32_e32 v27, v27, v35
	v_add_f32_e32 v28, v34, v28
	v_sub_f32_e32 v29, v41, v32
	v_add_f32_e32 v30, v31, v43
	ds_write2_b64 v2, v[19:20], v[21:22] offset0:39 offset1:193
	ds_write2_b64 v1, v[23:24], v[25:26] offset0:27 offset1:181
	;; [unrolled: 1-line block ×3, first 2 shown]
	s_waitcnt lgkmcnt(0)
	s_barrier
	s_and_saveexec_b64 s[4:5], s[0:1]
	s_cbranch_execz .LBB0_24
; %bb.23:
	v_mul_lo_u32 v0, s3, v38
	v_mul_lo_u32 v1, s2, v39
	v_mad_u64_u32 v[4:5], s[0:1], s2, v38, 0
	v_mov_b32_e32 v7, s11
	v_lshl_add_u32 v6, v40, 3, v49
	v_add3_u32 v5, v5, v1, v0
	v_lshlrev_b64 v[4:5], 3, v[4:5]
	v_mov_b32_e32 v41, 0
	v_add_co_u32_e32 v8, vcc, s10, v4
	v_addc_co_u32_e32 v7, vcc, v7, v5, vcc
	v_lshlrev_b64 v[4:5], 3, v[36:37]
	ds_read2_b64 v[0:3], v6 offset1:77
	v_add_co_u32_e32 v8, vcc, v8, v4
	v_addc_co_u32_e32 v7, vcc, v7, v5, vcc
	v_lshlrev_b64 v[4:5], 3, v[40:41]
	v_add_co_u32_e32 v4, vcc, v8, v4
	v_addc_co_u32_e32 v5, vcc, v7, v5, vcc
	s_waitcnt lgkmcnt(0)
	global_store_dwordx2 v[4:5], v[0:1], off
	v_add_u32_e32 v0, 0x4d, v40
	v_mov_b32_e32 v1, v41
	v_lshlrev_b64 v[0:1], 3, v[0:1]
	v_add_u32_e32 v4, 0x9a, v40
	v_add_co_u32_e32 v0, vcc, v8, v0
	v_addc_co_u32_e32 v1, vcc, v7, v1, vcc
	global_store_dwordx2 v[0:1], v[2:3], off
	v_mov_b32_e32 v5, v41
	ds_read2_b64 v[0:3], v6 offset0:154 offset1:231
	v_lshlrev_b64 v[4:5], 3, v[4:5]
	v_add_co_u32_e32 v4, vcc, v8, v4
	v_addc_co_u32_e32 v5, vcc, v7, v5, vcc
	s_waitcnt lgkmcnt(0)
	global_store_dwordx2 v[4:5], v[0:1], off
	v_add_u32_e32 v0, 0xe7, v40
	v_mov_b32_e32 v1, v41
	v_lshlrev_b64 v[0:1], 3, v[0:1]
	v_add_u32_e32 v4, 0x134, v40
	v_add_co_u32_e32 v0, vcc, v8, v0
	v_addc_co_u32_e32 v1, vcc, v7, v1, vcc
	global_store_dwordx2 v[0:1], v[2:3], off
	v_add_u32_e32 v0, 0x800, v6
	v_mov_b32_e32 v5, v41
	ds_read2_b64 v[0:3], v0 offset0:52 offset1:129
	v_lshlrev_b64 v[4:5], 3, v[4:5]
	v_add_co_u32_e32 v4, vcc, v8, v4
	v_addc_co_u32_e32 v5, vcc, v7, v5, vcc
	s_waitcnt lgkmcnt(0)
	global_store_dwordx2 v[4:5], v[0:1], off
	v_add_u32_e32 v0, 0x181, v40
	v_mov_b32_e32 v1, v41
	v_lshlrev_b64 v[0:1], 3, v[0:1]
	v_add_u32_e32 v4, 0x1ce, v40
	v_add_co_u32_e32 v0, vcc, v8, v0
	v_addc_co_u32_e32 v1, vcc, v7, v1, vcc
	global_store_dwordx2 v[0:1], v[2:3], off
	v_add_u32_e32 v0, 0xc00, v6
	;; [unrolled: 15-line block ×3, first 2 shown]
	v_mov_b32_e32 v5, v41
	ds_read2_b64 v[0:3], v0 offset0:104 offset1:181
	v_lshlrev_b64 v[4:5], 3, v[4:5]
	v_add_u32_e32 v6, 0x1800, v6
	v_add_co_u32_e32 v4, vcc, v8, v4
	v_addc_co_u32_e32 v5, vcc, v7, v5, vcc
	s_waitcnt lgkmcnt(0)
	global_store_dwordx2 v[4:5], v[0:1], off
	v_add_u32_e32 v0, 0x2b5, v40
	v_mov_b32_e32 v1, v41
	v_lshlrev_b64 v[0:1], 3, v[0:1]
	v_add_u32_e32 v4, 0x302, v40
	v_add_co_u32_e32 v0, vcc, v8, v0
	v_addc_co_u32_e32 v1, vcc, v7, v1, vcc
	global_store_dwordx2 v[0:1], v[2:3], off
	v_mov_b32_e32 v5, v41
	ds_read2_b64 v[0:3], v6 offset0:2 offset1:79
	v_lshlrev_b64 v[4:5], 3, v[4:5]
	v_add_co_u32_e32 v4, vcc, v8, v4
	v_addc_co_u32_e32 v5, vcc, v7, v5, vcc
	s_waitcnt lgkmcnt(0)
	global_store_dwordx2 v[4:5], v[0:1], off
	v_add_u32_e32 v0, 0x34f, v40
	v_mov_b32_e32 v1, v41
	v_lshlrev_b64 v[0:1], 3, v[0:1]
	v_add_u32_e32 v4, 0x39c, v40
	v_add_co_u32_e32 v0, vcc, v8, v0
	v_addc_co_u32_e32 v1, vcc, v7, v1, vcc
	global_store_dwordx2 v[0:1], v[2:3], off
	v_mov_b32_e32 v5, v41
	ds_read2_b64 v[0:3], v6 offset0:156 offset1:233
	v_lshlrev_b64 v[4:5], 3, v[4:5]
	v_add_u32_e32 v40, 0x3e9, v40
	v_add_co_u32_e32 v4, vcc, v8, v4
	v_addc_co_u32_e32 v5, vcc, v7, v5, vcc
	s_waitcnt lgkmcnt(0)
	global_store_dwordx2 v[4:5], v[0:1], off
	v_lshlrev_b64 v[0:1], 3, v[40:41]
	v_add_co_u32_e32 v0, vcc, v8, v0
	v_addc_co_u32_e32 v1, vcc, v7, v1, vcc
	global_store_dwordx2 v[0:1], v[2:3], off
.LBB0_24:
	s_endpgm
	.section	.rodata,"a",@progbits
	.p2align	6, 0x0
	.amdhsa_kernel fft_rtc_fwd_len1078_factors_2_11_7_7_wgs_231_tpt_77_halfLds_sp_op_CI_CI_unitstride_sbrr_C2R_dirReg
		.amdhsa_group_segment_fixed_size 0
		.amdhsa_private_segment_fixed_size 0
		.amdhsa_kernarg_size 104
		.amdhsa_user_sgpr_count 6
		.amdhsa_user_sgpr_private_segment_buffer 1
		.amdhsa_user_sgpr_dispatch_ptr 0
		.amdhsa_user_sgpr_queue_ptr 0
		.amdhsa_user_sgpr_kernarg_segment_ptr 1
		.amdhsa_user_sgpr_dispatch_id 0
		.amdhsa_user_sgpr_flat_scratch_init 0
		.amdhsa_user_sgpr_private_segment_size 0
		.amdhsa_uses_dynamic_stack 0
		.amdhsa_system_sgpr_private_segment_wavefront_offset 0
		.amdhsa_system_sgpr_workgroup_id_x 1
		.amdhsa_system_sgpr_workgroup_id_y 0
		.amdhsa_system_sgpr_workgroup_id_z 0
		.amdhsa_system_sgpr_workgroup_info 0
		.amdhsa_system_vgpr_workitem_id 0
		.amdhsa_next_free_vgpr 104
		.amdhsa_next_free_sgpr 28
		.amdhsa_reserve_vcc 1
		.amdhsa_reserve_flat_scratch 0
		.amdhsa_float_round_mode_32 0
		.amdhsa_float_round_mode_16_64 0
		.amdhsa_float_denorm_mode_32 3
		.amdhsa_float_denorm_mode_16_64 3
		.amdhsa_dx10_clamp 1
		.amdhsa_ieee_mode 1
		.amdhsa_fp16_overflow 0
		.amdhsa_exception_fp_ieee_invalid_op 0
		.amdhsa_exception_fp_denorm_src 0
		.amdhsa_exception_fp_ieee_div_zero 0
		.amdhsa_exception_fp_ieee_overflow 0
		.amdhsa_exception_fp_ieee_underflow 0
		.amdhsa_exception_fp_ieee_inexact 0
		.amdhsa_exception_int_div_zero 0
	.end_amdhsa_kernel
	.text
.Lfunc_end0:
	.size	fft_rtc_fwd_len1078_factors_2_11_7_7_wgs_231_tpt_77_halfLds_sp_op_CI_CI_unitstride_sbrr_C2R_dirReg, .Lfunc_end0-fft_rtc_fwd_len1078_factors_2_11_7_7_wgs_231_tpt_77_halfLds_sp_op_CI_CI_unitstride_sbrr_C2R_dirReg
                                        ; -- End function
	.section	.AMDGPU.csdata,"",@progbits
; Kernel info:
; codeLenInByte = 11268
; NumSgprs: 32
; NumVgprs: 104
; ScratchSize: 0
; MemoryBound: 0
; FloatMode: 240
; IeeeMode: 1
; LDSByteSize: 0 bytes/workgroup (compile time only)
; SGPRBlocks: 3
; VGPRBlocks: 25
; NumSGPRsForWavesPerEU: 32
; NumVGPRsForWavesPerEU: 104
; Occupancy: 2
; WaveLimiterHint : 1
; COMPUTE_PGM_RSRC2:SCRATCH_EN: 0
; COMPUTE_PGM_RSRC2:USER_SGPR: 6
; COMPUTE_PGM_RSRC2:TRAP_HANDLER: 0
; COMPUTE_PGM_RSRC2:TGID_X_EN: 1
; COMPUTE_PGM_RSRC2:TGID_Y_EN: 0
; COMPUTE_PGM_RSRC2:TGID_Z_EN: 0
; COMPUTE_PGM_RSRC2:TIDIG_COMP_CNT: 0
	.type	__hip_cuid_44aebc59f0fb47f,@object ; @__hip_cuid_44aebc59f0fb47f
	.section	.bss,"aw",@nobits
	.globl	__hip_cuid_44aebc59f0fb47f
__hip_cuid_44aebc59f0fb47f:
	.byte	0                               ; 0x0
	.size	__hip_cuid_44aebc59f0fb47f, 1

	.ident	"AMD clang version 19.0.0git (https://github.com/RadeonOpenCompute/llvm-project roc-6.4.0 25133 c7fe45cf4b819c5991fe208aaa96edf142730f1d)"
	.section	".note.GNU-stack","",@progbits
	.addrsig
	.addrsig_sym __hip_cuid_44aebc59f0fb47f
	.amdgpu_metadata
---
amdhsa.kernels:
  - .args:
      - .actual_access:  read_only
        .address_space:  global
        .offset:         0
        .size:           8
        .value_kind:     global_buffer
      - .offset:         8
        .size:           8
        .value_kind:     by_value
      - .actual_access:  read_only
        .address_space:  global
        .offset:         16
        .size:           8
        .value_kind:     global_buffer
      - .actual_access:  read_only
        .address_space:  global
        .offset:         24
        .size:           8
        .value_kind:     global_buffer
      - .actual_access:  read_only
        .address_space:  global
        .offset:         32
        .size:           8
        .value_kind:     global_buffer
      - .offset:         40
        .size:           8
        .value_kind:     by_value
      - .actual_access:  read_only
        .address_space:  global
        .offset:         48
        .size:           8
        .value_kind:     global_buffer
      - .actual_access:  read_only
        .address_space:  global
        .offset:         56
        .size:           8
        .value_kind:     global_buffer
      - .offset:         64
        .size:           4
        .value_kind:     by_value
      - .actual_access:  read_only
        .address_space:  global
        .offset:         72
        .size:           8
        .value_kind:     global_buffer
      - .actual_access:  read_only
        .address_space:  global
        .offset:         80
        .size:           8
        .value_kind:     global_buffer
      - .actual_access:  read_only
        .address_space:  global
        .offset:         88
        .size:           8
        .value_kind:     global_buffer
      - .actual_access:  write_only
        .address_space:  global
        .offset:         96
        .size:           8
        .value_kind:     global_buffer
    .group_segment_fixed_size: 0
    .kernarg_segment_align: 8
    .kernarg_segment_size: 104
    .language:       OpenCL C
    .language_version:
      - 2
      - 0
    .max_flat_workgroup_size: 231
    .name:           fft_rtc_fwd_len1078_factors_2_11_7_7_wgs_231_tpt_77_halfLds_sp_op_CI_CI_unitstride_sbrr_C2R_dirReg
    .private_segment_fixed_size: 0
    .sgpr_count:     32
    .sgpr_spill_count: 0
    .symbol:         fft_rtc_fwd_len1078_factors_2_11_7_7_wgs_231_tpt_77_halfLds_sp_op_CI_CI_unitstride_sbrr_C2R_dirReg.kd
    .uniform_work_group_size: 1
    .uses_dynamic_stack: false
    .vgpr_count:     104
    .vgpr_spill_count: 0
    .wavefront_size: 64
amdhsa.target:   amdgcn-amd-amdhsa--gfx906
amdhsa.version:
  - 1
  - 2
...

	.end_amdgpu_metadata
